;; amdgpu-corpus repo=ROCm/rocFFT kind=compiled arch=gfx906 opt=O3
	.text
	.amdgcn_target "amdgcn-amd-amdhsa--gfx906"
	.amdhsa_code_object_version 6
	.protected	bluestein_single_back_len1690_dim1_dp_op_CI_CI ; -- Begin function bluestein_single_back_len1690_dim1_dp_op_CI_CI
	.globl	bluestein_single_back_len1690_dim1_dp_op_CI_CI
	.p2align	8
	.type	bluestein_single_back_len1690_dim1_dp_op_CI_CI,@function
bluestein_single_back_len1690_dim1_dp_op_CI_CI: ; @bluestein_single_back_len1690_dim1_dp_op_CI_CI
; %bb.0:
	s_mov_b64 s[54:55], s[2:3]
	s_mov_b64 s[52:53], s[0:1]
	v_mul_u32_u24_e32 v1, 0x184, v0
	s_add_u32 s52, s52, s7
	v_add_u32_sdwa v3, s6, v1 dst_sel:DWORD dst_unused:UNUSED_PAD src0_sel:DWORD src1_sel:WORD_1
	s_addc_u32 s53, s53, 0
	v_mov_b32_e32 v2, v3
	buffer_store_dword v2, off, s[52:55], 0 ; 4-byte Folded Spill
	s_nop 0
	buffer_store_dword v3, off, s[52:55], 0 offset:4 ; 4-byte Folded Spill
	s_load_dwordx4 s[0:3], s[4:5], 0x28
	v_mov_b32_e32 v4, 0
	s_waitcnt lgkmcnt(0)
	v_cmp_gt_u64_e32 vcc, s[0:1], v[3:4]
	s_and_saveexec_b64 s[0:1], vcc
	s_cbranch_execz .LBB0_23
; %bb.1:
	s_load_dwordx2 s[14:15], s[4:5], 0x0
	s_load_dwordx2 s[12:13], s[4:5], 0x38
	s_movk_i32 s0, 0xa9
	v_mul_lo_u16_sdwa v1, v1, s0 dst_sel:DWORD dst_unused:UNUSED_PAD src0_sel:WORD_1 src1_sel:DWORD
	v_sub_u16_e32 v197, v0, v1
	s_movk_i32 s0, 0x82
	v_cmp_gt_u16_e64 s[0:1], s0, v197
	v_lshlrev_b32_e32 v255, 4, v197
	s_and_saveexec_b64 s[6:7], s[0:1]
	s_cbranch_execz .LBB0_3
; %bb.2:
	s_load_dwordx2 s[8:9], s[4:5], 0x18
	s_waitcnt lgkmcnt(0)
	s_load_dwordx4 s[8:11], s[8:9], 0x0
	buffer_load_dword v0, off, s[52:55], 0  ; 4-byte Folded Reload
	buffer_load_dword v1, off, s[52:55], 0 offset:4 ; 4-byte Folded Reload
	s_waitcnt lgkmcnt(0)
	v_mad_u64_u32 v[2:3], s[16:17], s8, v197, 0
	s_waitcnt vmcnt(1)
	v_mov_b32_e32 v4, v0
	s_waitcnt vmcnt(0)
	v_mad_u64_u32 v[0:1], s[16:17], s10, v4, 0
	v_mad_u64_u32 v[4:5], s[10:11], s11, v4, v[1:2]
	;; [unrolled: 1-line block ×3, first 2 shown]
	v_mov_b32_e32 v1, v4
	v_lshlrev_b64 v[0:1], 4, v[0:1]
	v_mov_b32_e32 v3, v5
	v_mov_b32_e32 v6, s3
	v_lshlrev_b64 v[2:3], 4, v[2:3]
	v_add_co_u32_e32 v0, vcc, s2, v0
	v_addc_co_u32_e32 v1, vcc, v6, v1, vcc
	v_add_co_u32_e32 v16, vcc, v0, v2
	v_addc_co_u32_e32 v17, vcc, v1, v3, vcc
	v_mov_b32_e32 v0, s15
	v_add_co_u32_e32 v100, vcc, s14, v255
	s_mul_i32 s2, s9, 0x820
	s_mul_hi_u32 s3, s8, 0x820
	v_addc_co_u32_e32 v101, vcc, 0, v0, vcc
	s_add_i32 s2, s3, s2
	s_mul_i32 s3, s8, 0x820
	v_mov_b32_e32 v4, s2
	v_add_co_u32_e32 v18, vcc, s3, v16
	v_addc_co_u32_e32 v19, vcc, v17, v4, vcc
	global_load_dwordx4 v[0:3], v255, s[14:15]
	global_load_dwordx4 v[4:7], v[16:17], off
	global_load_dwordx4 v[8:11], v[18:19], off
	global_load_dwordx4 v[12:15], v255, s[14:15] offset:2080
	v_mov_b32_e32 v16, s2
	v_add_co_u32_e32 v20, vcc, s3, v18
	v_addc_co_u32_e32 v21, vcc, v19, v16, vcc
	s_movk_i32 s8, 0x1000
	v_add_co_u32_e32 v28, vcc, s8, v100
	v_addc_co_u32_e32 v29, vcc, 0, v101, vcc
	v_mov_b32_e32 v22, s2
	v_add_co_u32_e32 v36, vcc, s3, v20
	v_addc_co_u32_e32 v37, vcc, v21, v22, vcc
	global_load_dwordx4 v[16:19], v[20:21], off
	s_nop 0
	global_load_dwordx4 v[20:23], v[28:29], off offset:64
	global_load_dwordx4 v[24:27], v[28:29], off offset:2144
	v_mov_b32_e32 v28, s2
	v_add_co_u32_e32 v38, vcc, s3, v36
	v_addc_co_u32_e32 v39, vcc, v37, v28, vcc
	s_movk_i32 s8, 0x2000
	v_add_co_u32_e32 v48, vcc, s8, v100
	v_addc_co_u32_e32 v49, vcc, 0, v101, vcc
	global_load_dwordx4 v[28:31], v[36:37], off
	global_load_dwordx4 v[32:35], v[38:39], off
	v_mov_b32_e32 v36, s2
	v_add_co_u32_e32 v50, vcc, s3, v38
	v_addc_co_u32_e32 v51, vcc, v39, v36, vcc
	global_load_dwordx4 v[36:39], v[50:51], off
	global_load_dwordx4 v[40:43], v[48:49], off offset:128
	global_load_dwordx4 v[44:47], v[48:49], off offset:2208
	v_mov_b32_e32 v48, s2
	v_add_co_u32_e32 v52, vcc, s3, v50
	v_addc_co_u32_e32 v53, vcc, v51, v48, vcc
	s_movk_i32 s8, 0x3000
	v_add_co_u32_e32 v64, vcc, s8, v100
	v_addc_co_u32_e32 v65, vcc, 0, v101, vcc
	v_mov_b32_e32 v54, s2
	v_add_co_u32_e32 v66, vcc, s3, v52
	v_addc_co_u32_e32 v67, vcc, v53, v54, vcc
	global_load_dwordx4 v[48:51], v[52:53], off
	s_nop 0
	global_load_dwordx4 v[52:55], v[66:67], off
	global_load_dwordx4 v[56:59], v[64:65], off offset:192
	global_load_dwordx4 v[60:63], v[64:65], off offset:2272
	v_mov_b32_e32 v64, s2
	v_add_co_u32_e32 v68, vcc, s3, v66
	v_addc_co_u32_e32 v69, vcc, v67, v64, vcc
	s_movk_i32 s8, 0x4000
	v_add_co_u32_e32 v80, vcc, s8, v100
	v_addc_co_u32_e32 v81, vcc, 0, v101, vcc
	v_mov_b32_e32 v70, s2
	v_add_co_u32_e32 v82, vcc, s3, v68
	v_addc_co_u32_e32 v83, vcc, v69, v70, vcc
	global_load_dwordx4 v[64:67], v[68:69], off
	s_nop 0
	;; [unrolled: 14-line block ×3, first 2 shown]
	global_load_dwordx4 v[84:87], v[98:99], off
	global_load_dwordx4 v[88:91], v[96:97], off offset:320
	global_load_dwordx4 v[92:95], v[96:97], off offset:2400
	v_mov_b32_e32 v97, s2
	v_add_co_u32_e32 v96, vcc, s3, v98
	v_addc_co_u32_e32 v97, vcc, v99, v97, vcc
	s_movk_i32 s2, 0x6000
	v_add_co_u32_e32 v100, vcc, s2, v100
	v_addc_co_u32_e32 v101, vcc, 0, v101, vcc
	global_load_dwordx4 v[96:99], v[96:97], off
	s_waitcnt vmcnt(23)
	v_mul_f64 v[104:105], v[6:7], v[2:3]
	global_load_dwordx4 v[100:103], v[100:101], off offset:384
	v_mul_f64 v[106:107], v[4:5], v[2:3]
	v_fma_f64 v[2:3], v[4:5], v[0:1], v[104:105]
	s_waitcnt vmcnt(20)
	v_mul_f64 v[104:105], v[18:19], v[22:23]
	v_fma_f64 v[4:5], v[6:7], v[0:1], -v[106:107]
	v_mul_f64 v[0:1], v[10:11], v[14:15]
	v_mul_f64 v[14:15], v[8:9], v[14:15]
	;; [unrolled: 1-line block ×3, first 2 shown]
	s_waitcnt vmcnt(18)
	v_mul_f64 v[106:107], v[30:31], v[26:27]
	v_mul_f64 v[26:27], v[28:29], v[26:27]
	s_waitcnt vmcnt(15)
	v_mul_f64 v[108:109], v[34:35], v[42:43]
	v_mul_f64 v[42:43], v[32:33], v[42:43]
	v_fma_f64 v[6:7], v[8:9], v[12:13], v[0:1]
	v_fma_f64 v[8:9], v[10:11], v[12:13], -v[14:15]
	v_fma_f64 v[10:11], v[16:17], v[20:21], v[104:105]
	v_fma_f64 v[12:13], v[18:19], v[20:21], -v[22:23]
	;; [unrolled: 2-line block ×4, first 2 shown]
	ds_write_b128 v255, v[2:5]
	ds_write_b128 v255, v[6:9] offset:2080
	ds_write_b128 v255, v[10:13] offset:4160
	;; [unrolled: 1-line block ×4, first 2 shown]
	s_waitcnt vmcnt(14)
	v_mul_f64 v[0:1], v[38:39], v[46:47]
	v_mul_f64 v[2:3], v[36:37], v[46:47]
	s_waitcnt vmcnt(11)
	v_mul_f64 v[4:5], v[50:51], v[58:59]
	v_mul_f64 v[6:7], v[48:49], v[58:59]
	;; [unrolled: 3-line block ×3, first 2 shown]
	v_fma_f64 v[0:1], v[36:37], v[44:45], v[0:1]
	v_fma_f64 v[2:3], v[38:39], v[44:45], -v[2:3]
	v_fma_f64 v[4:5], v[48:49], v[56:57], v[4:5]
	v_fma_f64 v[6:7], v[50:51], v[56:57], -v[6:7]
	;; [unrolled: 2-line block ×3, first 2 shown]
	s_waitcnt vmcnt(7)
	v_mul_f64 v[12:13], v[66:67], v[74:75]
	v_mul_f64 v[14:15], v[64:65], v[74:75]
	s_waitcnt vmcnt(6)
	v_mul_f64 v[16:17], v[70:71], v[78:79]
	v_mul_f64 v[18:19], v[68:69], v[78:79]
	v_fma_f64 v[12:13], v[64:65], v[72:73], v[12:13]
	v_fma_f64 v[14:15], v[66:67], v[72:73], -v[14:15]
	v_fma_f64 v[16:17], v[68:69], v[76:77], v[16:17]
	v_fma_f64 v[18:19], v[70:71], v[76:77], -v[18:19]
	s_waitcnt vmcnt(3)
	v_mul_f64 v[20:21], v[82:83], v[90:91]
	v_mul_f64 v[22:23], v[80:81], v[90:91]
	s_waitcnt vmcnt(2)
	v_mul_f64 v[24:25], v[86:87], v[94:95]
	v_mul_f64 v[26:27], v[84:85], v[94:95]
	v_fma_f64 v[20:21], v[80:81], v[88:89], v[20:21]
	v_fma_f64 v[22:23], v[82:83], v[88:89], -v[22:23]
	v_fma_f64 v[24:25], v[84:85], v[92:93], v[24:25]
	v_fma_f64 v[26:27], v[86:87], v[92:93], -v[26:27]
	s_waitcnt vmcnt(0)
	v_mul_f64 v[28:29], v[98:99], v[102:103]
	v_mul_f64 v[30:31], v[96:97], v[102:103]
	v_fma_f64 v[28:29], v[96:97], v[100:101], v[28:29]
	v_fma_f64 v[30:31], v[98:99], v[100:101], -v[30:31]
	ds_write_b128 v255, v[0:3] offset:10400
	ds_write_b128 v255, v[4:7] offset:12480
	;; [unrolled: 1-line block ×8, first 2 shown]
.LBB0_3:
	s_or_b64 exec, exec, s[6:7]
	s_load_dwordx2 s[6:7], s[4:5], 0x20
	s_load_dwordx2 s[2:3], s[4:5], 0x8
	s_waitcnt vmcnt(0) lgkmcnt(0)
	s_barrier
	s_waitcnt lgkmcnt(0)
                                        ; implicit-def: $vgpr0_vgpr1
                                        ; implicit-def: $vgpr4_vgpr5
                                        ; implicit-def: $vgpr8_vgpr9
                                        ; implicit-def: $vgpr12_vgpr13
                                        ; implicit-def: $vgpr16_vgpr17
                                        ; implicit-def: $vgpr20_vgpr21
                                        ; implicit-def: $vgpr24_vgpr25
                                        ; implicit-def: $vgpr28_vgpr29
                                        ; implicit-def: $vgpr32_vgpr33
                                        ; implicit-def: $vgpr36_vgpr37
                                        ; implicit-def: $vgpr40_vgpr41
                                        ; implicit-def: $vgpr44_vgpr45
                                        ; implicit-def: $vgpr48_vgpr49
	s_and_saveexec_b64 s[4:5], s[0:1]
	s_cbranch_execz .LBB0_5
; %bb.4:
	ds_read_b128 v[0:3], v255
	ds_read_b128 v[4:7], v255 offset:2080
	ds_read_b128 v[8:11], v255 offset:4160
	;; [unrolled: 1-line block ×12, first 2 shown]
.LBB0_5:
	s_or_b64 exec, exec, s[4:5]
	s_waitcnt lgkmcnt(0)
	v_add_f64 v[82:83], v[6:7], -v[50:51]
	v_add_f64 v[74:75], v[4:5], -v[48:49]
	s_mov_b32 s10, 0x42a4c3d2
	s_mov_b32 s11, 0xbfea55e2
	v_add_f64 v[70:71], v[4:5], v[48:49]
	v_add_f64 v[102:103], v[6:7], v[50:51]
	v_add_f64 v[108:109], v[10:11], -v[46:47]
	v_add_f64 v[98:99], v[8:9], -v[44:45]
	v_mul_f64 v[96:97], v[82:83], s[10:11]
	v_mul_f64 v[148:149], v[74:75], s[10:11]
	s_mov_b32 s18, 0x4267c47c
	s_mov_b32 s4, 0x1ea71119
	;; [unrolled: 1-line block ×6, first 2 shown]
	v_mul_f64 v[52:53], v[82:83], s[18:19]
	v_mul_f64 v[54:55], v[74:75], s[18:19]
	v_add_f64 v[76:77], v[8:9], v[44:45]
	v_add_f64 v[122:123], v[10:11], v[46:47]
	v_add_f64 v[124:125], v[14:15], -v[42:43]
	v_add_f64 v[112:113], v[12:13], -v[40:41]
	v_fma_f64 v[88:89], v[70:71], s[4:5], v[96:97]
	v_mul_f64 v[100:101], v[108:109], s[26:27]
	v_fma_f64 v[90:91], v[102:103], s[4:5], -v[148:149]
	v_mul_f64 v[116:117], v[98:99], s[26:27]
	s_mov_b32 s8, 0xe00740e9
	s_mov_b32 s22, 0x66966769
	;; [unrolled: 1-line block ×8, first 2 shown]
	v_fma_f64 v[60:61], v[70:71], s[8:9], v[52:53]
	v_fma_f64 v[62:63], v[102:103], s[8:9], -v[54:55]
	v_mul_f64 v[56:57], v[108:109], s[10:11]
	v_mul_f64 v[58:59], v[98:99], s[10:11]
	v_add_f64 v[106:107], v[12:13], v[40:41]
	v_add_f64 v[132:133], v[14:15], v[42:43]
	v_add_f64 v[136:137], v[18:19], -v[38:39]
	v_add_f64 v[120:121], v[16:17], -v[36:37]
	v_add_f64 v[88:89], v[0:1], v[88:89]
	v_fma_f64 v[92:93], v[76:77], s[24:25], v[100:101]
	v_add_f64 v[90:91], v[2:3], v[90:91]
	v_fma_f64 v[94:95], v[122:123], s[24:25], -v[116:117]
	v_mul_f64 v[104:105], v[124:125], s[36:37]
	v_mul_f64 v[118:119], v[112:113], s[36:37]
	;; [unrolled: 1-line block ×4, first 2 shown]
	s_mov_b32 s16, 0xebaa3ed8
	s_mov_b32 s30, 0x24c2f84
	;; [unrolled: 1-line block ×6, first 2 shown]
	v_add_f64 v[64:65], v[0:1], v[60:61]
	v_add_f64 v[66:67], v[2:3], v[62:63]
	v_fma_f64 v[68:69], v[76:77], s[4:5], v[56:57]
	v_fma_f64 v[72:73], v[122:123], s[4:5], -v[58:59]
	v_mul_f64 v[60:61], v[124:125], s[22:23]
	v_mul_f64 v[62:63], v[112:113], s[22:23]
	v_add_f64 v[110:111], v[16:17], v[36:37]
	v_add_f64 v[134:135], v[18:19], v[38:39]
	;; [unrolled: 1-line block ×4, first 2 shown]
	v_fma_f64 v[92:93], v[106:107], s[34:35], v[104:105]
	v_fma_f64 v[94:95], v[132:133], s[34:35], -v[118:119]
	v_mul_f64 v[114:115], v[136:137], s[30:31]
	v_mul_f64 v[138:139], v[120:121], s[30:31]
	v_fma_f64 v[126:127], v[70:71], s[16:17], v[142:143]
	v_mul_f64 v[144:145], v[108:109], s[36:37]
	v_fma_f64 v[130:131], v[102:103], s[16:17], -v[199:200]
	v_mul_f64 v[201:202], v[98:99], s[36:37]
	s_mov_b32 s28, 0xd0032e0c
	s_mov_b32 s29, 0xbfe7f3cc
	;; [unrolled: 1-line block ×4, first 2 shown]
	v_add_f64 v[68:69], v[68:69], v[64:65]
	v_add_f64 v[72:73], v[72:73], v[66:67]
	v_fma_f64 v[78:79], v[106:107], s[16:17], v[60:61]
	v_mul_f64 v[64:65], v[136:137], s[26:27]
	v_fma_f64 v[80:81], v[132:133], s[16:17], -v[62:63]
	v_mul_f64 v[66:67], v[120:121], s[26:27]
	v_add_f64 v[140:141], v[22:23], -v[34:35]
	v_add_f64 v[156:157], v[20:21], -v[32:33]
	v_add_f64 v[88:89], v[92:93], v[88:89]
	v_add_f64 v[90:91], v[94:95], v[90:91]
	v_fma_f64 v[92:93], v[110:111], s[28:29], v[114:115]
	v_fma_f64 v[94:95], v[134:135], s[28:29], -v[138:139]
	v_add_f64 v[126:127], v[0:1], v[126:127]
	v_fma_f64 v[150:151], v[76:77], s[34:35], v[144:145]
	v_add_f64 v[130:131], v[2:3], v[130:131]
	v_fma_f64 v[152:153], v[122:123], s[34:35], -v[201:202]
	v_mul_f64 v[146:147], v[124:125], s[44:45]
	v_mul_f64 v[162:163], v[112:113], s[44:45]
	s_mov_b32 s39, 0xbfe5384d
	s_mov_b32 s38, s30
	;; [unrolled: 1-line block ×4, first 2 shown]
	v_add_f64 v[78:79], v[78:79], v[68:69]
	v_fma_f64 v[84:85], v[110:111], s[24:25], v[64:65]
	v_add_f64 v[128:129], v[20:21], v[32:33]
	v_mul_f64 v[68:69], v[140:141], s[38:39]
	v_add_f64 v[80:81], v[80:81], v[72:73]
	v_fma_f64 v[86:87], v[134:135], s[24:25], -v[66:67]
	v_add_f64 v[158:159], v[22:23], v[34:35]
	v_mul_f64 v[72:73], v[156:157], s[38:39]
	v_add_f64 v[88:89], v[92:93], v[88:89]
	v_add_f64 v[90:91], v[94:95], v[90:91]
	;; [unrolled: 1-line block ×4, first 2 shown]
	v_fma_f64 v[130:131], v[106:107], s[24:25], v[146:147]
	v_fma_f64 v[154:155], v[132:133], s[24:25], -v[162:163]
	v_mul_f64 v[150:151], v[136:137], s[40:41]
	v_mul_f64 v[167:168], v[120:121], s[40:41]
	s_mov_b32 s43, 0x3fefc445
	s_mov_b32 s42, s22
	v_add_f64 v[78:79], v[84:85], v[78:79]
	v_fma_f64 v[84:85], v[128:129], s[28:29], v[68:69]
	v_add_f64 v[80:81], v[86:87], v[80:81]
	v_fma_f64 v[86:87], v[158:159], s[28:29], -v[72:73]
	v_add_f64 v[187:188], v[26:27], -v[30:31]
	v_add_f64 v[191:192], v[24:25], -v[28:29]
	v_mul_f64 v[126:127], v[140:141], s[42:43]
	v_mul_f64 v[152:153], v[156:157], s[42:43]
	v_add_f64 v[92:93], v[130:131], v[92:93]
	v_add_f64 v[94:95], v[154:155], v[94:95]
	v_fma_f64 v[164:165], v[110:111], s[8:9], v[150:151]
	v_fma_f64 v[171:172], v[134:135], s[8:9], -v[167:168]
	v_mul_f64 v[154:155], v[140:141], s[10:11]
	v_mul_f64 v[169:170], v[156:157], s[10:11]
	v_add_f64 v[84:85], v[84:85], v[78:79]
	v_add_f64 v[86:87], v[86:87], v[80:81]
	v_add_f64 v[173:174], v[24:25], v[28:29]
	v_mul_f64 v[78:79], v[187:188], s[36:37]
	v_add_f64 v[189:190], v[26:27], v[30:31]
	v_mul_f64 v[80:81], v[191:192], s[36:37]
	v_fma_f64 v[179:180], v[128:129], s[16:17], v[126:127]
	v_fma_f64 v[181:182], v[158:159], s[16:17], -v[152:153]
	v_mul_f64 v[130:131], v[187:188], s[40:41]
	v_mul_f64 v[160:161], v[191:192], s[40:41]
	v_add_f64 v[92:93], v[164:165], v[92:93]
	v_add_f64 v[94:95], v[171:172], v[94:95]
	v_fma_f64 v[183:184], v[128:129], s[4:5], v[154:155]
	v_fma_f64 v[185:186], v[158:159], s[4:5], -v[169:170]
	v_mul_f64 v[165:166], v[187:188], s[38:39]
	v_mul_f64 v[171:172], v[191:192], s[38:39]
	v_fma_f64 v[175:176], v[173:174], s[34:35], v[78:79]
	v_fma_f64 v[177:178], v[189:190], s[34:35], -v[80:81]
	v_add_f64 v[88:89], v[179:180], v[88:89]
	v_add_f64 v[90:91], v[181:182], v[90:91]
	v_fma_f64 v[179:180], v[173:174], s[8:9], v[130:131]
	v_fma_f64 v[181:182], v[189:190], s[8:9], -v[160:161]
	v_add_f64 v[183:184], v[183:184], v[92:93]
	v_add_f64 v[185:186], v[185:186], v[94:95]
	;; [unrolled: 4-line block ×3, first 2 shown]
	v_add_f64 v[88:89], v[179:180], v[88:89]
	v_add_f64 v[90:91], v[181:182], v[90:91]
	v_mul_lo_u16_e32 v164, 13, v197
	v_add_f64 v[84:85], v[193:194], v[183:184]
	v_add_f64 v[86:87], v[195:196], v[185:186]
	s_barrier
	buffer_store_dword v164, off, s[52:55], 0 offset:12 ; 4-byte Folded Spill
	s_mov_b64 s[20:21], exec
	s_and_b64 s[46:47], s[20:21], s[0:1]
	buffer_store_dword v197, off, s[52:55], 0 offset:8 ; 4-byte Folded Spill
	s_mov_b64 exec, s[46:47]
	s_cbranch_execz .LBB0_7
; %bb.6:
	v_mul_f64 v[203:204], v[102:103], s[34:35]
	s_mov_b32 s47, 0x3fcea1e5
	s_mov_b32 s46, s36
	v_mul_f64 v[205:206], v[122:123], s[8:9]
	v_mul_f64 v[211:212], v[82:83], s[36:37]
	;; [unrolled: 1-line block ×5, first 2 shown]
	v_fma_f64 v[207:208], v[74:75], s[46:47], v[203:204]
	v_mul_f64 v[243:244], v[124:125], s[38:39]
	v_fma_f64 v[203:204], v[74:75], s[36:37], v[203:204]
	v_fma_f64 v[229:230], v[98:99], s[18:19], v[205:206]
	;; [unrolled: 1-line block ×4, first 2 shown]
	v_fma_f64 v[211:212], v[70:71], s[34:35], -v[211:212]
	s_mov_b32 s49, 0x3fea55e2
	v_add_f64 v[207:208], v[2:3], v[207:208]
	s_mov_b32 s48, s10
	v_mul_f64 v[213:214], v[158:159], s[24:25]
	v_fma_f64 v[239:240], v[120:121], s[10:11], v[215:216]
	v_add_f64 v[235:236], v[0:1], v[235:236]
	v_mul_f64 v[245:246], v[136:137], s[48:49]
	v_fma_f64 v[247:248], v[106:107], s[28:29], v[243:244]
	v_fma_f64 v[205:206], v[98:99], s[40:41], v[205:206]
	v_add_f64 v[207:208], v[229:230], v[207:208]
	v_fma_f64 v[229:230], v[76:77], s[8:9], v[231:232]
	v_add_f64 v[203:204], v[2:3], v[203:204]
	v_fma_f64 v[231:232], v[76:77], s[8:9], -v[231:232]
	v_add_f64 v[211:212], v[0:1], v[211:212]
	v_mul_f64 v[209:210], v[189:190], s[16:17]
	v_fma_f64 v[237:238], v[156:157], s[44:45], v[213:214]
	v_fma_f64 v[217:218], v[112:113], s[38:39], v[217:218]
	v_add_f64 v[207:208], v[241:242], v[207:208]
	v_add_f64 v[229:230], v[229:230], v[235:236]
	v_mul_f64 v[235:236], v[140:141], s[26:27]
	v_fma_f64 v[241:242], v[110:111], s[4:5], v[245:246]
	v_add_f64 v[203:204], v[205:206], v[203:204]
	v_fma_f64 v[243:244], v[106:107], s[28:29], -v[243:244]
	v_add_f64 v[211:212], v[231:232], v[211:212]
	v_fma_f64 v[233:234], v[191:192], s[22:23], v[209:210]
	v_add_f64 v[207:208], v[239:240], v[207:208]
	v_add_f64 v[205:206], v[247:248], v[229:230]
	v_mul_f64 v[229:230], v[187:188], s[42:43]
	v_fma_f64 v[239:240], v[128:129], s[24:25], v[235:236]
	v_fma_f64 v[215:216], v[120:121], s[48:49], v[215:216]
	v_add_f64 v[203:204], v[217:218], v[203:204]
	v_add_f64 v[211:212], v[243:244], v[211:212]
	v_fma_f64 v[213:214], v[156:157], s[26:27], v[213:214]
	v_add_f64 v[207:208], v[237:238], v[207:208]
	v_add_f64 v[205:206], v[241:242], v[205:206]
	v_fma_f64 v[237:238], v[110:111], s[4:5], -v[245:246]
	v_fma_f64 v[217:218], v[173:174], s[16:17], v[229:230]
	v_fma_f64 v[229:230], v[173:174], s[16:17], -v[229:230]
	v_add_f64 v[203:204], v[215:216], v[203:204]
	v_mul_f64 v[243:244], v[124:125], s[10:11]
	v_mul_f64 v[183:184], v[102:103], s[8:9]
	;; [unrolled: 1-line block ×3, first 2 shown]
	v_add_f64 v[215:216], v[239:240], v[205:206]
	v_add_f64 v[205:206], v[233:234], v[207:208]
	v_mul_f64 v[233:234], v[102:103], s[28:29]
	v_fma_f64 v[207:208], v[191:192], s[42:43], v[209:210]
	v_fma_f64 v[209:210], v[128:129], s[24:25], -v[235:236]
	v_mul_f64 v[235:236], v[82:83], s[38:39]
	v_add_f64 v[211:212], v[237:238], v[211:212]
	v_add_f64 v[213:214], v[213:214], v[203:204]
	;; [unrolled: 1-line block ×3, first 2 shown]
	v_mul_f64 v[215:216], v[122:123], s[16:17]
	v_fma_f64 v[217:218], v[74:75], s[30:31], v[233:234]
	v_mul_f64 v[237:238], v[108:109], s[42:43]
	v_fma_f64 v[247:248], v[106:107], s[4:5], v[243:244]
	v_fma_f64 v[239:240], v[70:71], s[28:29], v[235:236]
	v_add_f64 v[211:212], v[209:210], v[211:212]
	v_add_f64 v[209:210], v[207:208], v[213:214]
	v_mul_f64 v[213:214], v[132:133], s[4:5]
	v_fma_f64 v[241:242], v[98:99], s[22:23], v[215:216]
	v_add_f64 v[217:218], v[2:3], v[217:218]
	v_fma_f64 v[245:246], v[76:77], s[16:17], v[237:238]
	v_fma_f64 v[215:216], v[98:99], s[42:43], v[215:216]
	v_add_f64 v[239:240], v[0:1], v[239:240]
	v_add_f64 v[207:208], v[229:230], v[211:212]
	v_fma_f64 v[229:230], v[74:75], s[38:39], v[233:234]
	v_mul_f64 v[211:212], v[134:135], s[34:35]
	v_fma_f64 v[233:234], v[112:113], s[48:49], v[213:214]
	v_add_f64 v[217:218], v[241:242], v[217:218]
	v_mul_f64 v[241:242], v[158:159], s[8:9]
	v_fma_f64 v[235:236], v[70:71], s[28:29], -v[235:236]
	v_add_f64 v[239:240], v[245:246], v[239:240]
	v_mul_f64 v[245:246], v[136:137], s[46:47]
	v_add_f64 v[229:230], v[2:3], v[229:230]
	v_fma_f64 v[249:250], v[120:121], s[36:37], v[211:212]
	v_fma_f64 v[213:214], v[112:113], s[10:11], v[213:214]
	v_add_f64 v[217:218], v[233:234], v[217:218]
	v_mul_f64 v[233:234], v[140:141], s[40:41]
	v_fma_f64 v[237:238], v[76:77], s[16:17], -v[237:238]
	v_add_f64 v[239:240], v[247:248], v[239:240]
	v_fma_f64 v[247:248], v[110:111], s[34:35], v[245:246]
	v_add_f64 v[215:216], v[215:216], v[229:230]
	v_mul_f64 v[229:230], v[189:190], s[24:25]
	v_add_f64 v[235:236], v[0:1], v[235:236]
	v_add_f64 v[217:218], v[249:250], v[217:218]
	v_fma_f64 v[249:250], v[156:157], s[18:19], v[241:242]
	v_mul_f64 v[221:222], v[102:103], s[16:17]
	v_fma_f64 v[211:212], v[120:121], s[46:47], v[211:212]
	v_add_f64 v[239:240], v[247:248], v[239:240]
	v_fma_f64 v[247:248], v[128:129], s[8:9], v[233:234]
	v_add_f64 v[213:214], v[213:214], v[215:216]
	v_mul_f64 v[215:216], v[187:188], s[26:27]
	v_fma_f64 v[243:244], v[106:107], s[4:5], -v[243:244]
	v_add_f64 v[235:236], v[237:238], v[235:236]
	v_add_f64 v[217:218], v[249:250], v[217:218]
	v_fma_f64 v[249:250], v[191:192], s[44:45], v[229:230]
	v_mul_f64 v[102:103], v[102:103], s[24:25]
	v_add_f64 v[239:240], v[247:248], v[239:240]
	v_mul_f64 v[181:182], v[122:123], s[4:5]
	v_fma_f64 v[247:248], v[173:174], s[24:25], v[215:216]
	v_mul_f64 v[223:224], v[122:123], s[24:25]
	v_mul_f64 v[227:228], v[122:123], s[34:35]
	v_add_f64 v[251:252], v[211:212], v[213:214]
	v_add_f64 v[235:236], v[243:244], v[235:236]
	;; [unrolled: 1-line block ×3, first 2 shown]
	v_fma_f64 v[217:218], v[110:111], s[34:35], -v[245:246]
	v_fma_f64 v[241:242], v[156:157], s[40:41], v[241:242]
	v_add_f64 v[211:212], v[247:248], v[239:240]
	v_mul_f64 v[122:123], v[122:123], s[28:29]
	v_mul_f64 v[82:83], v[82:83], s[26:27]
	v_fma_f64 v[239:240], v[74:75], s[44:45], v[102:103]
	v_fma_f64 v[74:75], v[74:75], s[26:27], v[102:103]
	v_mul_f64 v[197:198], v[132:133], s[16:17]
	v_mul_f64 v[237:238], v[132:133], s[34:35]
	;; [unrolled: 1-line block ×3, first 2 shown]
	v_fma_f64 v[229:230], v[191:192], s[26:27], v[229:230]
	v_fma_f64 v[233:234], v[128:129], s[8:9], -v[233:234]
	v_add_f64 v[217:218], v[217:218], v[235:236]
	v_add_f64 v[235:236], v[241:242], v[251:252]
	v_fma_f64 v[241:242], v[98:99], s[38:39], v[122:123]
	v_mul_f64 v[108:109], v[108:109], s[30:31]
	v_fma_f64 v[245:246], v[70:71], s[24:25], v[82:83]
	v_add_f64 v[239:240], v[2:3], v[239:240]
	v_mul_f64 v[132:133], v[132:133], s[8:9]
	v_fma_f64 v[98:99], v[98:99], s[30:31], v[122:123]
	v_add_f64 v[74:75], v[2:3], v[74:75]
	v_mul_f64 v[175:176], v[70:71], s[8:9]
	v_mul_f64 v[177:178], v[70:71], s[4:5]
	;; [unrolled: 1-line block ×3, first 2 shown]
	v_add_f64 v[233:234], v[233:234], v[217:218]
	v_add_f64 v[217:218], v[229:230], v[235:236]
	v_mul_f64 v[229:230], v[134:135], s[16:17]
	v_mul_f64 v[124:125], v[124:125], s[40:41]
	v_fma_f64 v[235:236], v[76:77], s[28:29], v[108:109]
	v_add_f64 v[245:246], v[0:1], v[245:246]
	v_add_f64 v[239:240], v[241:242], v[239:240]
	v_fma_f64 v[241:242], v[112:113], s[18:19], v[132:133]
	v_fma_f64 v[112:113], v[112:113], s[40:41], v[132:133]
	v_add_f64 v[74:75], v[98:99], v[74:75]
	v_fma_f64 v[70:71], v[70:71], s[24:25], -v[82:83]
	v_mul_f64 v[179:180], v[76:77], s[4:5]
	v_mul_f64 v[185:186], v[76:77], s[24:25]
	;; [unrolled: 1-line block ×3, first 2 shown]
	v_fma_f64 v[247:248], v[120:121], s[42:43], v[229:230]
	v_fma_f64 v[102:103], v[106:107], s[8:9], v[124:125]
	v_add_f64 v[235:236], v[235:236], v[245:246]
	v_mul_f64 v[136:137], v[136:137], s[22:23]
	v_mul_f64 v[98:99], v[158:159], s[34:35]
	v_fma_f64 v[120:121], v[120:121], s[22:23], v[229:230]
	v_add_f64 v[74:75], v[112:113], v[74:75]
	v_fma_f64 v[76:77], v[76:77], s[28:29], -v[108:109]
	v_add_f64 v[70:71], v[0:1], v[70:71]
	v_mul_f64 v[193:194], v[106:107], s[16:17]
	v_mul_f64 v[231:232], v[106:107], s[34:35]
	;; [unrolled: 1-line block ×3, first 2 shown]
	v_fma_f64 v[215:216], v[173:174], s[24:25], -v[215:216]
	v_add_f64 v[239:240], v[241:242], v[239:240]
	v_add_f64 v[102:103], v[102:103], v[235:236]
	v_fma_f64 v[235:236], v[110:111], s[16:17], v[136:137]
	v_fma_f64 v[112:113], v[156:157], s[36:37], v[98:99]
	;; [unrolled: 1-line block ×3, first 2 shown]
	v_mul_f64 v[108:109], v[189:190], s[4:5]
	v_add_f64 v[74:75], v[120:121], v[74:75]
	v_mul_f64 v[140:141], v[140:141], s[46:47]
	v_fma_f64 v[106:107], v[106:107], s[8:9], -v[124:125]
	v_add_f64 v[70:71], v[76:77], v[70:71]
	v_add_f64 v[215:216], v[215:216], v[233:234]
	v_mul_f64 v[233:234], v[110:111], s[24:25]
	v_mul_f64 v[245:246], v[110:111], s[28:29]
	v_add_f64 v[239:240], v[247:248], v[239:240]
	v_mul_f64 v[247:248], v[110:111], s[8:9]
	v_add_f64 v[102:103], v[235:236], v[102:103]
	v_fma_f64 v[76:77], v[191:192], s[10:11], v[108:109]
	v_fma_f64 v[108:109], v[191:192], s[48:49], v[108:109]
	v_add_f64 v[74:75], v[98:99], v[74:75]
	v_fma_f64 v[98:99], v[128:129], s[34:35], v[140:141]
	v_fma_f64 v[110:111], v[110:111], s[16:17], -v[136:137]
	v_add_f64 v[70:71], v[106:107], v[70:71]
	v_add_f64 v[199:200], v[199:200], v[221:222]
	;; [unrolled: 1-line block ×3, first 2 shown]
	v_mul_f64 v[241:242], v[134:135], s[24:25]
	v_mul_f64 v[122:123], v[134:135], s[28:29]
	;; [unrolled: 1-line block ×3, first 2 shown]
	v_add_f64 v[98:99], v[98:99], v[102:103]
	v_fma_f64 v[102:103], v[128:129], s[34:35], -v[140:141]
	v_add_f64 v[110:111], v[110:111], v[70:71]
	v_add_f64 v[70:71], v[108:109], v[74:75]
	;; [unrolled: 1-line block ×6, first 2 shown]
	v_add_f64 v[142:143], v[195:196], -v[142:143]
	v_add_f64 v[4:5], v[4:5], v[8:9]
	v_add_f64 v[102:103], v[102:103], v[110:111]
	;; [unrolled: 1-line block ×3, first 2 shown]
	v_mul_f64 v[235:236], v[158:159], s[28:29]
	v_add_f64 v[74:75], v[74:75], v[108:109]
	v_add_f64 v[108:109], v[116:117], v[223:224]
	;; [unrolled: 1-line block ×3, first 2 shown]
	v_mul_f64 v[229:230], v[158:159], s[16:17]
	v_mul_f64 v[158:159], v[158:159], s[4:5]
	v_add_f64 v[6:7], v[6:7], v[10:11]
	v_add_f64 v[8:9], v[167:168], v[134:135]
	v_add_f64 v[10:11], v[225:226], -v[144:145]
	v_add_f64 v[134:135], v[0:1], v[142:143]
	v_add_f64 v[74:75], v[110:111], v[74:75]
	;; [unrolled: 1-line block ×7, first 2 shown]
	v_add_f64 v[14:15], v[253:254], -v[146:147]
	v_add_f64 v[10:11], v[10:11], v[134:135]
	v_add_f64 v[8:9], v[8:9], v[74:75]
	;; [unrolled: 1-line block ×6, first 2 shown]
	v_mul_f64 v[82:83], v[128:129], s[16:17]
	v_mul_f64 v[156:157], v[128:129], s[4:5]
	v_add_f64 v[10:11], v[14:15], v[10:11]
	v_add_f64 v[8:9], v[12:13], v[8:9]
	;; [unrolled: 1-line block ×6, first 2 shown]
	v_add_f64 v[18:19], v[247:248], -v[150:151]
	v_mul_f64 v[191:192], v[173:174], s[8:9]
	v_mul_f64 v[136:137], v[189:190], s[8:9]
	;; [unrolled: 1-line block ×3, first 2 shown]
	v_add_f64 v[22:23], v[156:157], -v[154:155]
	v_add_f64 v[12:13], v[12:13], v[14:15]
	v_add_f64 v[4:5], v[4:5], v[24:25]
	v_add_f64 v[14:15], v[175:176], -v[52:53]
	v_add_f64 v[24:25], v[177:178], -v[96:97]
	v_add_f64 v[6:7], v[6:7], v[26:27]
	v_add_f64 v[26:27], v[185:186], -v[100:101]
	v_add_f64 v[10:11], v[18:19], v[10:11]
	;; [unrolled: 2-line block ×3, first 2 shown]
	v_add_f64 v[4:5], v[4:5], v[28:29]
	v_add_f64 v[14:15], v[0:1], v[14:15]
	;; [unrolled: 1-line block ×4, first 2 shown]
	v_add_f64 v[24:25], v[231:232], -v[104:105]
	v_add_f64 v[22:23], v[22:23], v[10:11]
	v_add_f64 v[28:29], v[62:63], v[197:198]
	buffer_load_dword v197, off, s[52:55], 0 offset:8 ; 4-byte Folded Reload
	v_add_f64 v[4:5], v[4:5], v[32:33]
	v_add_f64 v[54:55], v[54:55], v[183:184]
	;; [unrolled: 1-line block ×4, first 2 shown]
	v_add_f64 v[26:27], v[245:246], -v[114:115]
	v_add_f64 v[52:53], v[58:59], v[181:182]
	v_add_f64 v[30:31], v[193:194], -v[60:61]
	v_mul_f64 v[132:133], v[128:129], s[28:29]
	v_add_f64 v[4:5], v[4:5], v[36:37]
	v_add_f64 v[2:3], v[2:3], v[54:55]
	;; [unrolled: 1-line block ×4, first 2 shown]
	v_add_f64 v[24:25], v[82:83], -v[126:127]
	v_add_f64 v[54:55], v[179:180], -v[56:57]
	v_add_f64 v[32:33], v[66:67], v[241:242]
	v_mul_f64 v[120:121], v[173:174], s[34:35]
	v_add_f64 v[4:5], v[4:5], v[40:41]
	v_add_f64 v[2:3], v[52:53], v[2:3]
	;; [unrolled: 1-line block ×4, first 2 shown]
	v_add_f64 v[26:27], v[191:192], -v[130:131]
	v_add_f64 v[14:15], v[54:55], v[14:15]
	v_mul_f64 v[124:125], v[189:190], s[34:35]
	v_mul_f64 v[189:190], v[189:190], s[28:29]
	v_add_f64 v[4:5], v[4:5], v[44:45]
	v_add_f64 v[2:3], v[28:29], v[2:3]
	;; [unrolled: 1-line block ×5, first 2 shown]
	v_add_f64 v[28:29], v[233:234], -v[64:65]
	v_add_f64 v[14:15], v[30:31], v[14:15]
	v_add_f64 v[30:31], v[72:73], v[235:236]
	;; [unrolled: 1-line block ×6, first 2 shown]
	buffer_load_dword v20, off, s[52:55], 0 offset:12 ; 4-byte Folded Reload
	v_add_f64 v[32:33], v[132:133], -v[68:69]
	v_add_f64 v[14:15], v[28:29], v[14:15]
	v_mul_f64 v[187:188], v[187:188], s[48:49]
	v_add_f64 v[16:17], v[171:172], v[189:190]
	v_add_f64 v[28:29], v[80:81], v[124:125]
	;; [unrolled: 1-line block ×3, first 2 shown]
	v_add_f64 v[34:35], v[120:121], -v[78:79]
	v_add_f64 v[112:113], v[112:113], v[239:240]
	v_add_f64 v[32:33], v[32:33], v[14:15]
	v_fma_f64 v[128:129], v[173:174], s[4:5], -v[187:188]
	v_fma_f64 v[221:222], v[173:174], s[4:5], v[187:188]
	v_add_f64 v[14:15], v[36:37], v[50:51]
	v_add_f64 v[2:3], v[16:17], v[8:9]
	;; [unrolled: 1-line block ×7, first 2 shown]
	s_waitcnt vmcnt(0)
	v_lshlrev_b32_e32 v20, 4, v20
	ds_write_b128 v20, v[12:15]
	ds_write_b128 v20, v[8:11] offset:16
	ds_write_b128 v20, v[4:7] offset:32
	;; [unrolled: 1-line block ×12, first 2 shown]
.LBB0_7:
	s_or_b64 exec, exec, s[20:21]
	s_movk_i32 s8, 0x4f
	v_mul_lo_u16_sdwa v0, v197, s8 dst_sel:DWORD dst_unused:UNUSED_PAD src0_sel:BYTE_0 src1_sel:DWORD
	v_lshrrev_b16_e32 v136, 10, v0
	v_mul_lo_u16_e32 v0, 13, v136
	v_sub_u16_e32 v0, v197, v0
	v_and_b32_e32 v137, 0xff, v0
	v_mov_b32_e32 v0, s2
	s_movk_i32 s8, 0x90
	v_mov_b32_e32 v1, s3
	v_mad_u64_u32 v[0:1], s[8:9], v137, s8, v[0:1]
	s_load_dwordx4 s[4:7], s[6:7], 0x0
	s_waitcnt vmcnt(0) lgkmcnt(0)
	s_barrier
	global_load_dwordx4 v[32:35], v[0:1], off
	global_load_dwordx4 v[24:27], v[0:1], off offset:16
	global_load_dwordx4 v[16:19], v[0:1], off offset:32
	;; [unrolled: 1-line block ×8, first 2 shown]
	ds_read_b128 v[0:3], v255
	ds_read_b128 v[4:7], v255 offset:2704
	ds_read_b128 v[8:11], v255 offset:5408
	;; [unrolled: 1-line block ×9, first 2 shown]
	s_mov_b32 s8, 0x134454ff
	s_mov_b32 s9, 0x3fee6f0e
	;; [unrolled: 1-line block ×12, first 2 shown]
	s_waitcnt vmcnt(0) lgkmcnt(0)
	s_barrier
	v_mul_f64 v[76:77], v[6:7], v[34:35]
	v_mul_f64 v[80:81], v[10:11], v[26:27]
	;; [unrolled: 1-line block ×10, first 2 shown]
	v_fma_f64 v[8:9], v[8:9], v[24:25], -v[80:81]
	v_fma_f64 v[52:53], v[52:53], v[12:13], -v[100:101]
	v_mul_f64 v[96:97], v[22:23], v[18:19]
	v_fma_f64 v[60:61], v[60:61], v[36:37], -v[108:109]
	v_mul_f64 v[98:99], v[20:21], v[18:19]
	;; [unrolled: 2-line block ×3, first 2 shown]
	v_fma_f64 v[4:5], v[4:5], v[32:33], -v[76:77]
	v_fma_f64 v[6:7], v[6:7], v[32:33], v[78:79]
	v_fma_f64 v[10:11], v[10:11], v[24:25], v[82:83]
	;; [unrolled: 1-line block ×5, first 2 shown]
	v_add_f64 v[76:77], v[0:1], v[8:9]
	v_add_f64 v[78:79], v[52:53], v[60:61]
	;; [unrolled: 1-line block ×3, first 2 shown]
	v_mul_f64 v[104:105], v[58:59], v[46:47]
	v_mul_f64 v[112:113], v[66:67], v[30:31]
	v_fma_f64 v[20:21], v[20:21], v[16:17], -v[96:97]
	v_fma_f64 v[22:23], v[22:23], v[16:17], v[98:99]
	v_fma_f64 v[58:59], v[58:59], v[44:45], v[106:107]
	v_add_f64 v[80:81], v[10:11], -v[70:71]
	v_add_f64 v[82:83], v[54:55], -v[62:63]
	;; [unrolled: 1-line block ×5, first 2 shown]
	v_add_f64 v[106:107], v[2:3], v[10:11]
	v_add_f64 v[108:109], v[54:55], v[62:63]
	v_add_f64 v[110:111], v[52:53], -v[60:61]
	v_add_f64 v[116:117], v[10:11], v[70:71]
	v_add_f64 v[52:53], v[76:77], v[52:53]
	v_fma_f64 v[76:77], v[78:79], -0.5, v[0:1]
	v_fma_f64 v[0:1], v[100:101], -0.5, v[0:1]
	v_mul_f64 v[114:115], v[64:65], v[30:31]
	v_mul_f64 v[120:121], v[74:75], v[50:51]
	v_fma_f64 v[56:57], v[56:57], v[44:45], -v[104:105]
	v_fma_f64 v[64:65], v[64:65], v[28:29], -v[112:113]
	v_add_f64 v[104:105], v[60:61], -v[68:69]
	v_add_f64 v[112:113], v[10:11], -v[54:55]
	;; [unrolled: 1-line block ×3, first 2 shown]
	v_add_f64 v[78:79], v[96:97], v[98:99]
	v_add_f64 v[54:55], v[106:107], v[54:55]
	v_fma_f64 v[98:99], v[108:109], -0.5, v[2:3]
	v_fma_f64 v[2:3], v[116:117], -0.5, v[2:3]
	v_add_f64 v[52:53], v[52:53], v[60:61]
	v_fma_f64 v[60:61], v[80:81], s[8:9], v[76:77]
	v_fma_f64 v[76:77], v[80:81], s[18:19], v[76:77]
	;; [unrolled: 1-line block ×4, first 2 shown]
	v_mul_f64 v[122:123], v[72:73], v[50:51]
	v_fma_f64 v[66:67], v[66:67], v[28:29], v[114:115]
	v_fma_f64 v[72:73], v[72:73], v[48:49], -v[120:121]
	v_add_f64 v[8:9], v[8:9], -v[68:69]
	v_add_f64 v[118:119], v[62:63], -v[70:71]
	v_add_f64 v[120:121], v[4:5], v[20:21]
	v_add_f64 v[96:97], v[102:103], v[104:105]
	;; [unrolled: 1-line block ×3, first 2 shown]
	v_fma_f64 v[108:109], v[110:111], s[8:9], v[2:3]
	v_fma_f64 v[2:3], v[110:111], s[18:19], v[2:3]
	;; [unrolled: 1-line block ×7, first 2 shown]
	v_add_f64 v[114:115], v[70:71], -v[62:63]
	v_add_f64 v[122:123], v[56:57], v[64:65]
	v_add_f64 v[102:103], v[120:121], v[56:57]
	;; [unrolled: 1-line block ×3, first 2 shown]
	v_fma_f64 v[60:61], v[78:79], s[16:17], v[60:61]
	v_fma_f64 v[70:71], v[78:79], s[16:17], v[76:77]
	;; [unrolled: 1-line block ×5, first 2 shown]
	v_add_f64 v[10:11], v[10:11], v[118:119]
	v_fma_f64 v[2:3], v[8:9], s[10:11], v[2:3]
	v_add_f64 v[96:97], v[58:59], v[66:67]
	v_add_f64 v[124:125], v[22:23], -v[74:75]
	v_add_f64 v[132:133], v[20:21], v[72:73]
	v_fma_f64 v[104:105], v[122:123], -0.5, v[4:5]
	v_fma_f64 v[62:63], v[8:9], s[18:19], v[98:99]
	v_fma_f64 v[98:99], v[8:9], s[8:9], v[98:99]
	v_add_f64 v[8:9], v[102:103], v[64:65]
	v_fma_f64 v[78:79], v[10:11], s[16:17], v[78:79]
	v_fma_f64 v[2:3], v[10:11], s[16:17], v[2:3]
	v_add_f64 v[10:11], v[22:23], v[74:75]
	v_fma_f64 v[96:97], v[96:97], -0.5, v[6:7]
	v_add_f64 v[102:103], v[20:21], -v[72:73]
	v_add_f64 v[126:127], v[58:59], -v[66:67]
	;; [unrolled: 1-line block ×4, first 2 shown]
	v_add_f64 v[100:101], v[112:113], v[114:115]
	v_fma_f64 v[112:113], v[124:125], s[8:9], v[104:105]
	v_fma_f64 v[62:63], v[110:111], s[20:21], v[62:63]
	v_add_f64 v[52:53], v[52:53], v[68:69]
	v_fma_f64 v[68:69], v[110:111], s[10:11], v[98:99]
	v_fma_f64 v[4:5], v[132:133], -0.5, v[4:5]
	v_fma_f64 v[98:99], v[124:125], s[18:19], v[104:105]
	v_add_f64 v[8:9], v[8:9], v[72:73]
	v_add_f64 v[104:105], v[6:7], v[22:23]
	v_add_f64 v[106:107], v[56:57], -v[64:65]
	v_fma_f64 v[6:7], v[10:11], -0.5, v[6:7]
	v_add_f64 v[10:11], v[56:57], -v[20:21]
	v_add_f64 v[20:21], v[64:65], -v[72:73]
	v_fma_f64 v[56:57], v[102:103], s[18:19], v[96:97]
	v_add_f64 v[64:65], v[22:23], -v[58:59]
	v_add_f64 v[72:73], v[74:75], -v[66:67]
	v_fma_f64 v[62:63], v[100:101], s[16:17], v[62:63]
	v_fma_f64 v[68:69], v[100:101], s[16:17], v[68:69]
	;; [unrolled: 1-line block ×4, first 2 shown]
	v_add_f64 v[104:105], v[104:105], v[58:59]
	v_fma_f64 v[108:109], v[106:107], s[8:9], v[6:7]
	v_add_f64 v[22:23], v[58:59], -v[22:23]
	v_add_f64 v[58:59], v[66:67], -v[74:75]
	v_fma_f64 v[56:57], v[106:107], s[20:21], v[56:57]
	v_fma_f64 v[96:97], v[102:103], s[8:9], v[96:97]
	v_add_f64 v[64:65], v[64:65], v[72:73]
	v_fma_f64 v[6:7], v[106:107], s[18:19], v[6:7]
	v_fma_f64 v[80:81], v[126:127], s[10:11], v[112:113]
	v_add_f64 v[82:83], v[128:129], v[130:131]
	;; [unrolled: 3-line block ×4, first 2 shown]
	v_add_f64 v[58:59], v[104:105], v[66:67]
	v_fma_f64 v[66:67], v[106:107], s[10:11], v[96:97]
	v_fma_f64 v[56:57], v[64:65], s[16:17], v[56:57]
	;; [unrolled: 1-line block ×8, first 2 shown]
	v_add_f64 v[20:21], v[58:59], v[74:75]
	v_fma_f64 v[58:59], v[64:65], s[16:17], v[66:67]
	v_mul_f64 v[64:65], v[56:57], s[10:11]
	v_fma_f64 v[6:7], v[22:23], s[16:17], v[6:7]
	v_mul_f64 v[74:75], v[72:73], s[22:23]
	v_mul_f64 v[98:99], v[82:83], s[18:19]
	;; [unrolled: 1-line block ×4, first 2 shown]
	v_add_f64 v[96:97], v[52:53], v[8:9]
	v_mul_f64 v[104:105], v[58:59], s[22:23]
	v_fma_f64 v[64:65], v[80:81], s[22:23], v[64:65]
	v_mul_f64 v[80:81], v[80:81], s[20:21]
	v_mul_f64 v[102:103], v[6:7], s[16:17]
	v_fma_f64 v[58:59], v[58:59], s[10:11], -v[74:75]
	v_fma_f64 v[6:7], v[6:7], s[8:9], -v[66:67]
	v_fma_f64 v[22:23], v[82:83], s[16:17], v[22:23]
	v_fma_f64 v[10:11], v[10:11], s[16:17], v[98:99]
	v_fma_f64 v[66:67], v[72:73], s[20:21], -v[104:105]
	v_add_f64 v[100:101], v[60:61], v[64:65]
	v_fma_f64 v[56:57], v[56:57], s[22:23], v[80:81]
	v_fma_f64 v[4:5], v[4:5], s[18:19], -v[102:103]
	v_add_f64 v[112:113], v[70:71], v[58:59]
	v_add_f64 v[108:109], v[0:1], v[6:7]
	;; [unrolled: 1-line block ×8, first 2 shown]
	v_add_f64 v[116:117], v[52:53], -v[8:9]
	v_add_f64 v[120:121], v[60:61], -v[64:65]
	v_add_f64 v[124:125], v[76:77], -v[22:23]
	v_add_f64 v[128:129], v[0:1], -v[6:7]
	v_add_f64 v[132:133], v[70:71], -v[58:59]
	v_add_f64 v[118:119], v[54:55], -v[20:21]
	v_add_f64 v[122:123], v[62:63], -v[56:57]
	v_add_f64 v[126:127], v[78:79], -v[10:11]
	v_add_f64 v[130:131], v[2:3], -v[4:5]
	v_add_f64 v[134:135], v[68:69], -v[66:67]
	v_mul_u32_u24_e32 v0, 0x82, v136
	v_add_lshl_u32 v168, v0, v137, 4
	ds_write_b128 v168, v[96:99]
	ds_write_b128 v168, v[100:103] offset:208
	ds_write_b128 v168, v[104:107] offset:416
	;; [unrolled: 1-line block ×9, first 2 shown]
	s_waitcnt lgkmcnt(0)
	s_barrier
	s_and_saveexec_b64 s[8:9], s[0:1]
	s_cbranch_execz .LBB0_9
; %bb.8:
	ds_read_b128 v[96:99], v255
	ds_read_b128 v[100:103], v255 offset:2080
	ds_read_b128 v[104:107], v255 offset:4160
	;; [unrolled: 1-line block ×12, first 2 shown]
.LBB0_9:
	s_or_b64 exec, exec, s[8:9]
	v_add_u32_e32 v0, 0xffffff7e, v197
	v_cndmask_b32_e64 v0, v0, v197, s[0:1]
	v_mul_hi_i32_i24_e32 v1, 0xc0, v0
	v_mul_i32_i24_e32 v0, 0xc0, v0
	v_mov_b32_e32 v2, s3
	v_add_co_u32_e32 v60, vcc, s2, v0
	v_addc_co_u32_e32 v61, vcc, v2, v1, vcc
	global_load_dwordx4 v[4:7], v[60:61], off offset:1872
	global_load_dwordx4 v[0:3], v[60:61], off offset:1888
	;; [unrolled: 1-line block ×11, first 2 shown]
	s_nop 0
	global_load_dwordx4 v[60:63], v[60:61], off offset:2048
	s_mov_b32 s19, 0xbfddbe06
	s_mov_b32 s18, 0x4267c47c
	;; [unrolled: 1-line block ×30, first 2 shown]
	s_waitcnt vmcnt(11) lgkmcnt(11)
	v_mul_f64 v[136:137], v[102:103], v[6:7]
	v_mul_f64 v[138:139], v[100:101], v[6:7]
	s_waitcnt vmcnt(10) lgkmcnt(10)
	v_mul_f64 v[140:141], v[106:107], v[2:3]
	v_mul_f64 v[142:143], v[104:105], v[2:3]
	s_waitcnt vmcnt(9) lgkmcnt(9)
	v_mul_f64 v[144:145], v[110:111], v[10:11]
	s_waitcnt vmcnt(6) lgkmcnt(6)
	v_mul_f64 v[156:157], v[122:123], v[82:83]
	v_mul_f64 v[158:159], v[120:121], v[82:83]
	s_waitcnt vmcnt(4) lgkmcnt(4)
	v_mul_f64 v[164:165], v[130:131], v[66:67]
	;; [unrolled: 3-line block ×4, first 2 shown]
	v_mul_f64 v[179:180], v[88:89], v[58:59]
	v_fma_f64 v[136:137], v[100:101], v[4:5], -v[136:137]
	v_fma_f64 v[138:139], v[102:103], v[4:5], v[138:139]
	v_mul_f64 v[146:147], v[108:109], v[10:11]
	v_fma_f64 v[140:141], v[104:105], v[0:1], -v[140:141]
	v_fma_f64 v[142:143], v[106:107], v[0:1], v[142:143]
	v_fma_f64 v[100:101], v[120:121], v[80:81], -v[156:157]
	v_fma_f64 v[102:103], v[122:123], v[80:81], v[158:159]
	;; [unrolled: 2-line block ×5, first 2 shown]
	v_add_f64 v[88:89], v[96:97], v[136:137]
	v_add_f64 v[90:91], v[98:99], v[138:139]
	v_mul_f64 v[148:149], v[114:115], v[22:23]
	v_mul_f64 v[150:151], v[112:113], v[22:23]
	v_fma_f64 v[108:109], v[108:109], v[8:9], -v[144:145]
	v_fma_f64 v[110:111], v[110:111], v[8:9], v[146:147]
	v_mul_f64 v[152:153], v[118:119], v[70:71]
	v_mul_f64 v[154:155], v[116:117], v[70:71]
	v_add_f64 v[88:89], v[88:89], v[140:141]
	v_add_f64 v[90:91], v[90:91], v[142:143]
	v_fma_f64 v[112:113], v[112:113], v[20:21], -v[148:149]
	v_fma_f64 v[114:115], v[114:115], v[20:21], v[150:151]
	v_mul_f64 v[160:161], v[126:127], v[78:79]
	v_mul_f64 v[162:163], v[124:125], v[78:79]
	v_fma_f64 v[116:117], v[116:117], v[68:69], -v[152:153]
	v_fma_f64 v[118:119], v[118:119], v[68:69], v[154:155]
	v_add_f64 v[88:89], v[88:89], v[108:109]
	v_add_f64 v[90:91], v[90:91], v[110:111]
	v_mul_f64 v[169:170], v[134:135], v[74:75]
	v_mul_f64 v[171:172], v[132:133], v[74:75]
	v_fma_f64 v[104:105], v[124:125], v[76:77], -v[160:161]
	v_fma_f64 v[106:107], v[126:127], v[76:77], v[162:163]
	s_waitcnt vmcnt(0) lgkmcnt(0)
	v_mul_f64 v[181:182], v[94:95], v[62:63]
	v_mul_f64 v[183:184], v[92:93], v[62:63]
	v_add_f64 v[88:89], v[88:89], v[112:113]
	v_add_f64 v[90:91], v[90:91], v[114:115]
	v_fma_f64 v[124:125], v[132:133], v[72:73], -v[169:170]
	v_fma_f64 v[126:127], v[134:135], v[72:73], v[171:172]
	v_add_f64 v[144:145], v[140:141], v[84:85]
	v_add_f64 v[146:147], v[142:143], v[86:87]
	v_fma_f64 v[92:93], v[92:93], v[60:61], -v[181:182]
	v_fma_f64 v[94:95], v[94:95], v[60:61], v[183:184]
	v_add_f64 v[88:89], v[88:89], v[116:117]
	v_add_f64 v[90:91], v[90:91], v[118:119]
	v_add_f64 v[148:149], v[140:141], -v[84:85]
	v_add_f64 v[150:151], v[142:143], -v[86:87]
	v_add_f64 v[132:133], v[136:137], v[92:93]
	v_add_f64 v[134:135], v[138:139], v[94:95]
	;; [unrolled: 1-line block ×4, first 2 shown]
	v_add_f64 v[138:139], v[138:139], -v[94:95]
	v_add_f64 v[136:137], v[136:137], -v[92:93]
	v_mul_f64 v[169:170], v[150:151], s[28:29]
	v_mul_f64 v[171:172], v[148:149], s[28:29]
	v_add_f64 v[88:89], v[88:89], v[104:105]
	v_add_f64 v[90:91], v[90:91], v[106:107]
	v_mul_f64 v[140:141], v[138:139], s[18:19]
	v_mul_f64 v[142:143], v[136:137], s[18:19]
	;; [unrolled: 1-line block ×6, first 2 shown]
	v_add_f64 v[88:89], v[88:89], v[120:121]
	v_add_f64 v[90:91], v[90:91], v[122:123]
	v_mul_f64 v[160:161], v[138:139], s[20:21]
	v_mul_f64 v[162:163], v[136:137], s[20:21]
	;; [unrolled: 1-line block ×6, first 2 shown]
	v_add_f64 v[88:89], v[88:89], v[124:125]
	v_add_f64 v[90:91], v[90:91], v[126:127]
	v_fma_f64 v[173:174], v[132:133], s[10:11], -v[140:141]
	v_fma_f64 v[175:176], v[134:135], s[10:11], v[142:143]
	v_fma_f64 v[140:141], v[132:133], s[10:11], v[140:141]
	v_fma_f64 v[142:143], v[134:135], s[10:11], -v[142:143]
	v_fma_f64 v[177:178], v[132:133], s[8:9], -v[152:153]
	v_fma_f64 v[179:180], v[134:135], s[8:9], v[154:155]
	v_add_f64 v[88:89], v[88:89], v[128:129]
	v_add_f64 v[90:91], v[90:91], v[130:131]
	v_fma_f64 v[152:153], v[132:133], s[8:9], v[152:153]
	v_fma_f64 v[154:155], v[134:135], s[8:9], -v[154:155]
	v_fma_f64 v[181:182], v[132:133], s[2:3], -v[156:157]
	v_fma_f64 v[183:184], v[134:135], s[2:3], v[158:159]
	v_fma_f64 v[156:157], v[132:133], s[2:3], v[156:157]
	v_fma_f64 v[158:159], v[134:135], s[2:3], -v[158:159]
	v_add_f64 v[84:85], v[88:89], v[84:85]
	v_add_f64 v[86:87], v[90:91], v[86:87]
	v_fma_f64 v[185:186], v[132:133], s[16:17], -v[160:161]
	v_fma_f64 v[187:188], v[134:135], s[16:17], v[162:163]
	v_fma_f64 v[160:161], v[132:133], s[16:17], v[160:161]
	v_fma_f64 v[162:163], v[134:135], s[16:17], -v[162:163]
	v_fma_f64 v[189:190], v[132:133], s[22:23], -v[164:165]
	v_fma_f64 v[191:192], v[134:135], s[22:23], v[166:167]
	v_fma_f64 v[164:165], v[132:133], s[22:23], v[164:165]
	v_fma_f64 v[166:167], v[134:135], s[22:23], -v[166:167]
	;; [unrolled: 4-line block ×3, first 2 shown]
	v_fma_f64 v[136:137], v[144:145], s[8:9], -v[169:170]
	v_fma_f64 v[138:139], v[146:147], s[8:9], v[171:172]
	v_add_f64 v[173:174], v[96:97], v[173:174]
	v_add_f64 v[175:176], v[98:99], v[175:176]
	;; [unrolled: 1-line block ×4, first 2 shown]
	v_mul_f64 v[92:93], v[150:151], s[20:21]
	v_mul_f64 v[94:95], v[148:149], s[20:21]
	v_add_f64 v[140:141], v[96:97], v[140:141]
	v_add_f64 v[142:143], v[98:99], v[142:143]
	;; [unrolled: 1-line block ×24, first 2 shown]
	v_mul_f64 v[136:137], v[150:151], s[30:31]
	v_mul_f64 v[138:139], v[148:149], s[30:31]
	v_fma_f64 v[169:170], v[144:145], s[8:9], v[169:170]
	v_fma_f64 v[171:172], v[146:147], s[8:9], -v[171:172]
	v_fma_f64 v[173:174], v[144:145], s[16:17], -v[92:93]
	v_fma_f64 v[175:176], v[146:147], s[16:17], v[94:95]
	v_fma_f64 v[92:93], v[144:145], s[16:17], v[92:93]
	v_fma_f64 v[94:95], v[146:147], s[16:17], -v[94:95]
	v_fma_f64 v[193:194], v[144:145], s[26:27], -v[136:137]
	v_fma_f64 v[195:196], v[146:147], s[26:27], v[138:139]
	v_add_f64 v[140:141], v[169:170], v[140:141]
	v_add_f64 v[142:143], v[171:172], v[142:143]
	;; [unrolled: 1-line block ×4, first 2 shown]
	v_mul_f64 v[173:174], v[150:151], s[38:39]
	v_mul_f64 v[175:176], v[148:149], s[38:39]
	v_add_f64 v[92:93], v[92:93], v[152:153]
	v_add_f64 v[94:95], v[94:95], v[154:155]
	;; [unrolled: 1-line block ×4, first 2 shown]
	v_fma_f64 v[138:139], v[146:147], s[26:27], -v[138:139]
	s_mov_b32 s19, 0x3fddbe06
	v_fma_f64 v[181:182], v[144:145], s[22:23], -v[173:174]
	v_fma_f64 v[183:184], v[146:147], s[22:23], v[175:176]
	v_fma_f64 v[175:176], v[146:147], s[22:23], -v[175:176]
	v_mul_f64 v[177:178], v[150:151], s[36:37]
	v_fma_f64 v[136:137], v[144:145], s[26:27], v[136:137]
	v_mul_f64 v[179:180], v[148:149], s[36:37]
	v_add_f64 v[138:139], v[138:139], v[158:159]
	v_mul_f64 v[150:151], v[150:151], s[18:19]
	v_add_f64 v[158:159], v[181:182], v[185:186]
	v_add_f64 v[181:182], v[183:184], v[187:188]
	;; [unrolled: 1-line block ×3, first 2 shown]
	v_add_f64 v[175:176], v[110:111], -v[130:131]
	v_add_f64 v[183:184], v[108:109], -v[128:129]
	v_mul_f64 v[148:149], v[148:149], s[18:19]
	v_add_f64 v[108:109], v[108:109], v[128:129]
	v_add_f64 v[110:111], v[110:111], v[130:131]
	v_fma_f64 v[173:174], v[144:145], s[22:23], v[173:174]
	v_fma_f64 v[193:194], v[144:145], s[2:3], -v[177:178]
	v_add_f64 v[136:137], v[136:137], v[156:157]
	v_mul_f64 v[128:129], v[175:176], s[34:35]
	v_mul_f64 v[130:131], v[183:184], s[34:35]
	v_fma_f64 v[156:157], v[146:147], s[2:3], v[179:180]
	v_fma_f64 v[177:178], v[144:145], s[2:3], v[177:178]
	v_fma_f64 v[179:180], v[146:147], s[2:3], -v[179:180]
	v_fma_f64 v[185:186], v[144:145], s[10:11], -v[150:151]
	v_fma_f64 v[187:188], v[146:147], s[10:11], v[148:149]
	v_fma_f64 v[144:145], v[144:145], s[10:11], v[150:151]
	v_fma_f64 v[146:147], v[146:147], s[10:11], -v[148:149]
	v_fma_f64 v[148:149], v[108:109], s[2:3], -v[128:129]
	v_fma_f64 v[150:151], v[110:111], s[2:3], v[130:131]
	v_fma_f64 v[128:129], v[108:109], s[2:3], v[128:129]
	v_fma_f64 v[130:131], v[110:111], s[2:3], -v[130:131]
	v_add_f64 v[88:89], v[177:178], v[88:89]
	v_add_f64 v[90:91], v[179:180], v[90:91]
	;; [unrolled: 1-line block ×6, first 2 shown]
	v_mul_f64 v[144:145], v[175:176], s[30:31]
	v_mul_f64 v[146:147], v[183:184], s[30:31]
	;; [unrolled: 1-line block ×4, first 2 shown]
	v_add_f64 v[128:129], v[128:129], v[140:141]
	v_add_f64 v[130:131], v[130:131], v[142:143]
	;; [unrolled: 1-line block ×4, first 2 shown]
	v_fma_f64 v[177:178], v[108:109], s[26:27], -v[144:145]
	v_fma_f64 v[179:180], v[110:111], s[26:27], v[146:147]
	v_fma_f64 v[144:145], v[108:109], s[26:27], v[144:145]
	v_fma_f64 v[146:147], v[110:111], s[26:27], -v[146:147]
	v_fma_f64 v[140:141], v[108:109], s[16:17], -v[148:149]
	v_fma_f64 v[142:143], v[110:111], s[16:17], v[150:151]
	v_fma_f64 v[148:149], v[108:109], s[16:17], v[148:149]
	v_fma_f64 v[150:151], v[110:111], s[16:17], -v[150:151]
	v_add_f64 v[156:157], v[156:157], v[191:192]
	v_add_f64 v[169:170], v[177:178], v[169:170]
	;; [unrolled: 1-line block ×4, first 2 shown]
	v_mul_f64 v[144:145], v[175:176], s[18:19]
	v_mul_f64 v[146:147], v[183:184], s[18:19]
	v_add_f64 v[140:141], v[140:141], v[152:153]
	v_add_f64 v[142:143], v[142:143], v[154:155]
	v_mul_f64 v[152:153], v[175:176], s[28:29]
	v_mul_f64 v[154:155], v[183:184], s[28:29]
	v_add_f64 v[171:172], v[179:180], v[171:172]
	v_add_f64 v[136:137], v[148:149], v[136:137]
	v_fma_f64 v[177:178], v[108:109], s[10:11], -v[144:145]
	v_fma_f64 v[179:180], v[110:111], s[10:11], v[146:147]
	v_fma_f64 v[144:145], v[108:109], s[10:11], v[144:145]
	v_fma_f64 v[146:147], v[110:111], s[10:11], -v[146:147]
	v_add_f64 v[138:139], v[150:151], v[138:139]
	v_fma_f64 v[148:149], v[108:109], s[8:9], -v[152:153]
	v_fma_f64 v[150:151], v[110:111], s[8:9], v[154:155]
	v_fma_f64 v[152:153], v[108:109], s[8:9], v[152:153]
	v_add_f64 v[158:159], v[177:178], v[158:159]
	v_add_f64 v[177:178], v[179:180], v[181:182]
	;; [unrolled: 1-line block ×4, first 2 shown]
	v_mul_f64 v[160:161], v[175:176], s[24:25]
	v_mul_f64 v[162:163], v[183:184], s[24:25]
	v_add_f64 v[148:149], v[148:149], v[173:174]
	v_add_f64 v[150:151], v[150:151], v[156:157]
	v_add_f64 v[156:157], v[114:115], -v[126:127]
	v_add_f64 v[173:174], v[112:113], -v[124:125]
	v_fma_f64 v[154:155], v[110:111], s[8:9], -v[154:155]
	v_add_f64 v[112:113], v[112:113], v[124:125]
	v_fma_f64 v[175:176], v[108:109], s[22:23], -v[160:161]
	v_fma_f64 v[179:180], v[110:111], s[22:23], v[162:163]
	v_add_f64 v[114:115], v[114:115], v[126:127]
	v_fma_f64 v[108:109], v[108:109], s[22:23], v[160:161]
	v_mul_f64 v[124:125], v[156:157], s[20:21]
	v_mul_f64 v[126:127], v[173:174], s[20:21]
	v_fma_f64 v[110:111], v[110:111], s[22:23], -v[162:163]
	v_add_f64 v[164:165], v[185:186], v[164:165]
	v_add_f64 v[166:167], v[187:188], v[166:167]
	;; [unrolled: 1-line block ×5, first 2 shown]
	v_fma_f64 v[160:161], v[112:113], s[16:17], -v[124:125]
	v_fma_f64 v[162:163], v[114:115], s[16:17], v[126:127]
	v_add_f64 v[98:99], v[110:111], v[98:99]
	v_mul_f64 v[108:109], v[156:157], s[38:39]
	v_mul_f64 v[110:111], v[173:174], s[38:39]
	v_add_f64 v[152:153], v[175:176], v[164:165]
	v_add_f64 v[154:155], v[179:180], v[166:167]
	v_fma_f64 v[124:125], v[112:113], s[16:17], v[124:125]
	v_fma_f64 v[126:127], v[114:115], s[16:17], -v[126:127]
	v_add_f64 v[132:133], v[160:161], v[132:133]
	v_add_f64 v[134:135], v[162:163], v[134:135]
	v_mul_f64 v[160:161], v[156:157], s[18:19]
	v_mul_f64 v[162:163], v[173:174], s[18:19]
	v_fma_f64 v[164:165], v[112:113], s[22:23], -v[108:109]
	v_fma_f64 v[166:167], v[114:115], s[22:23], v[110:111]
	v_add_f64 v[124:125], v[124:125], v[128:129]
	v_add_f64 v[126:127], v[126:127], v[130:131]
	v_fma_f64 v[108:109], v[112:113], s[22:23], v[108:109]
	v_fma_f64 v[110:111], v[114:115], s[22:23], -v[110:111]
	v_fma_f64 v[128:129], v[112:113], s[10:11], -v[160:161]
	v_fma_f64 v[130:131], v[114:115], s[10:11], v[162:163]
	v_add_f64 v[164:165], v[164:165], v[169:170]
	v_add_f64 v[166:167], v[166:167], v[171:172]
	v_mul_f64 v[169:170], v[156:157], s[34:35]
	v_mul_f64 v[171:172], v[173:174], s[34:35]
	s_mov_b32 s39, 0x3fcea1e5
	s_mov_b32 s38, s30
	v_add_f64 v[92:93], v[108:109], v[92:93]
	v_add_f64 v[94:95], v[110:111], v[94:95]
	;; [unrolled: 1-line block ×4, first 2 shown]
	v_fma_f64 v[128:129], v[112:113], s[10:11], v[160:161]
	v_fma_f64 v[130:131], v[114:115], s[10:11], -v[162:163]
	v_fma_f64 v[140:141], v[112:113], s[2:3], -v[169:170]
	v_fma_f64 v[142:143], v[114:115], s[2:3], v[171:172]
	v_mul_f64 v[160:161], v[156:157], s[38:39]
	v_mul_f64 v[162:163], v[173:174], s[38:39]
	s_mov_b32 s35, 0x3fea55e2
	s_mov_b32 s34, s28
	v_add_f64 v[128:129], v[128:129], v[136:137]
	v_add_f64 v[130:131], v[130:131], v[138:139]
	;; [unrolled: 1-line block ×4, first 2 shown]
	v_fma_f64 v[140:141], v[112:113], s[26:27], -v[160:161]
	v_fma_f64 v[142:143], v[114:115], s[26:27], v[162:163]
	v_fma_f64 v[169:170], v[112:113], s[2:3], v[169:170]
	v_fma_f64 v[171:172], v[114:115], s[2:3], -v[171:172]
	v_mul_f64 v[156:157], v[156:157], s[34:35]
	v_mul_f64 v[158:159], v[173:174], s[34:35]
	v_fma_f64 v[160:161], v[112:113], s[26:27], v[160:161]
	v_fma_f64 v[162:163], v[114:115], s[26:27], -v[162:163]
	v_add_f64 v[140:141], v[140:141], v[148:149]
	v_add_f64 v[142:143], v[142:143], v[150:151]
	v_add_f64 v[148:149], v[118:119], -v[122:123]
	v_add_f64 v[150:151], v[116:117], -v[120:121]
	v_add_f64 v[144:145], v[169:170], v[144:145]
	v_add_f64 v[146:147], v[171:172], v[146:147]
	v_fma_f64 v[169:170], v[112:113], s[8:9], -v[156:157]
	v_fma_f64 v[171:172], v[114:115], s[8:9], v[158:159]
	v_add_f64 v[116:117], v[116:117], v[120:121]
	v_add_f64 v[118:119], v[118:119], v[122:123]
	v_mul_f64 v[120:121], v[148:149], s[24:25]
	v_mul_f64 v[122:123], v[150:151], s[24:25]
	v_fma_f64 v[112:113], v[112:113], s[8:9], v[156:157]
	v_fma_f64 v[114:115], v[114:115], s[8:9], -v[158:159]
	v_add_f64 v[88:89], v[160:161], v[88:89]
	v_add_f64 v[90:91], v[162:163], v[90:91]
	;; [unrolled: 1-line block ×4, first 2 shown]
	v_fma_f64 v[156:157], v[116:117], s[22:23], -v[120:121]
	v_fma_f64 v[158:159], v[118:119], s[22:23], v[122:123]
	v_add_f64 v[96:97], v[112:113], v[96:97]
	v_add_f64 v[98:99], v[114:115], v[98:99]
	v_mul_f64 v[112:113], v[148:149], s[36:37]
	v_mul_f64 v[114:115], v[150:151], s[36:37]
	v_fma_f64 v[120:121], v[116:117], s[22:23], v[120:121]
	v_fma_f64 v[122:123], v[118:119], s[22:23], -v[122:123]
	v_add_f64 v[132:133], v[156:157], v[132:133]
	v_add_f64 v[134:135], v[158:159], v[134:135]
	v_mul_f64 v[156:157], v[148:149], s[28:29]
	v_mul_f64 v[158:159], v[150:151], s[28:29]
	v_fma_f64 v[160:161], v[116:117], s[2:3], -v[112:113]
	v_fma_f64 v[162:163], v[118:119], s[2:3], v[114:115]
	v_add_f64 v[120:121], v[120:121], v[124:125]
	v_add_f64 v[122:123], v[122:123], v[126:127]
	v_fma_f64 v[112:113], v[116:117], s[2:3], v[112:113]
	v_fma_f64 v[114:115], v[118:119], s[2:3], -v[114:115]
	v_fma_f64 v[124:125], v[116:117], s[8:9], -v[156:157]
	v_fma_f64 v[126:127], v[118:119], s[8:9], v[158:159]
	v_add_f64 v[160:161], v[160:161], v[164:165]
	v_add_f64 v[162:163], v[162:163], v[166:167]
	v_mul_f64 v[164:165], v[148:149], s[38:39]
	v_mul_f64 v[166:167], v[150:151], s[38:39]
	v_add_f64 v[112:113], v[112:113], v[92:93]
	v_add_f64 v[114:115], v[114:115], v[94:95]
	;; [unrolled: 1-line block ×4, first 2 shown]
	v_fma_f64 v[92:93], v[116:117], s[8:9], v[156:157]
	v_fma_f64 v[94:95], v[118:119], s[8:9], -v[158:159]
	v_fma_f64 v[108:109], v[116:117], s[26:27], -v[164:165]
	v_fma_f64 v[110:111], v[118:119], s[26:27], v[166:167]
	v_mul_f64 v[156:157], v[148:149], s[18:19]
	v_mul_f64 v[158:159], v[150:151], s[18:19]
	v_fma_f64 v[164:165], v[116:117], s[26:27], v[164:165]
	v_fma_f64 v[166:167], v[118:119], s[26:27], -v[166:167]
	v_add_f64 v[128:129], v[92:93], v[128:129]
	v_add_f64 v[130:131], v[94:95], v[130:131]
	;; [unrolled: 1-line block ×4, first 2 shown]
	v_fma_f64 v[92:93], v[116:117], s[10:11], -v[156:157]
	v_fma_f64 v[94:95], v[118:119], s[10:11], v[158:159]
	v_fma_f64 v[108:109], v[116:117], s[10:11], v[156:157]
	v_fma_f64 v[110:111], v[118:119], s[10:11], -v[158:159]
	v_mul_f64 v[148:149], v[148:149], s[20:21]
	v_mul_f64 v[150:151], v[150:151], s[20:21]
	v_add_f64 v[156:157], v[102:103], -v[106:107]
	v_add_f64 v[158:159], v[100:101], -v[104:105]
	v_add_f64 v[144:145], v[164:165], v[144:145]
	v_add_f64 v[146:147], v[166:167], v[146:147]
	v_add_f64 v[140:141], v[92:93], v[140:141]
	v_add_f64 v[142:143], v[94:95], v[142:143]
	v_add_f64 v[164:165], v[108:109], v[88:89]
	v_add_f64 v[166:167], v[110:111], v[90:91]
	v_fma_f64 v[88:89], v[116:117], s[16:17], -v[148:149]
	v_fma_f64 v[90:91], v[118:119], s[16:17], v[150:151]
	v_add_f64 v[169:170], v[100:101], v[104:105]
	v_add_f64 v[171:172], v[102:103], v[106:107]
	v_mul_f64 v[92:93], v[156:157], s[30:31]
	v_mul_f64 v[94:95], v[158:159], s[30:31]
	v_fma_f64 v[100:101], v[116:117], s[16:17], v[148:149]
	v_fma_f64 v[102:103], v[118:119], s[16:17], -v[150:151]
	v_mul_f64 v[104:105], v[156:157], s[18:19]
	v_mul_f64 v[106:107], v[158:159], s[18:19]
	v_add_f64 v[148:149], v[88:89], v[152:153]
	v_add_f64 v[150:151], v[90:91], v[154:155]
	v_fma_f64 v[88:89], v[169:170], s[26:27], -v[92:93]
	v_fma_f64 v[90:91], v[171:172], s[26:27], v[94:95]
	v_add_f64 v[152:153], v[100:101], v[96:97]
	v_add_f64 v[154:155], v[102:103], v[98:99]
	v_fma_f64 v[92:93], v[169:170], s[26:27], v[92:93]
	v_fma_f64 v[94:95], v[171:172], s[26:27], -v[94:95]
	v_fma_f64 v[96:97], v[169:170], s[10:11], -v[104:105]
	v_fma_f64 v[98:99], v[171:172], s[10:11], v[106:107]
	v_mul_f64 v[108:109], v[156:157], s[24:25]
	v_mul_f64 v[110:111], v[158:159], s[24:25]
	;; [unrolled: 1-line block ×4, first 2 shown]
	v_add_f64 v[100:101], v[92:93], v[120:121]
	v_add_f64 v[102:103], v[94:95], v[122:123]
	v_add_f64 v[92:93], v[96:97], v[160:161]
	v_add_f64 v[94:95], v[98:99], v[162:163]
	v_fma_f64 v[96:97], v[169:170], s[10:11], v[104:105]
	v_fma_f64 v[98:99], v[171:172], s[10:11], -v[106:107]
	v_fma_f64 v[104:105], v[169:170], s[22:23], -v[108:109]
	v_fma_f64 v[106:107], v[171:172], s[22:23], v[110:111]
	v_fma_f64 v[120:121], v[169:170], s[22:23], v[108:109]
	v_fma_f64 v[122:123], v[171:172], s[22:23], -v[110:111]
	v_add_f64 v[88:89], v[88:89], v[132:133]
	v_add_f64 v[90:91], v[90:91], v[134:135]
	;; [unrolled: 1-line block ×6, first 2 shown]
	v_fma_f64 v[104:105], v[169:170], s[8:9], -v[116:117]
	v_fma_f64 v[106:107], v[171:172], s[8:9], v[118:119]
	v_add_f64 v[112:113], v[120:121], v[128:129]
	v_add_f64 v[114:115], v[122:123], v[130:131]
	v_fma_f64 v[116:117], v[169:170], s[8:9], v[116:117]
	v_fma_f64 v[118:119], v[171:172], s[8:9], -v[118:119]
	v_mul_f64 v[120:121], v[156:157], s[20:21]
	v_mul_f64 v[122:123], v[158:159], s[20:21]
	;; [unrolled: 1-line block ×4, first 2 shown]
	v_add_f64 v[104:105], v[104:105], v[136:137]
	v_add_f64 v[106:107], v[106:107], v[138:139]
	;; [unrolled: 1-line block ×4, first 2 shown]
	v_fma_f64 v[128:129], v[169:170], s[16:17], -v[120:121]
	v_fma_f64 v[130:131], v[171:172], s[16:17], v[122:123]
	v_fma_f64 v[132:133], v[169:170], s[16:17], v[120:121]
	v_fma_f64 v[134:135], v[171:172], s[16:17], -v[122:123]
	v_fma_f64 v[136:137], v[169:170], s[2:3], -v[124:125]
	v_fma_f64 v[138:139], v[171:172], s[2:3], v[126:127]
	v_fma_f64 v[144:145], v[169:170], s[2:3], v[124:125]
	v_fma_f64 v[146:147], v[171:172], s[2:3], -v[126:127]
	v_add_f64 v[120:121], v[128:129], v[140:141]
	v_add_f64 v[122:123], v[130:131], v[142:143]
	;; [unrolled: 1-line block ×8, first 2 shown]
	s_and_saveexec_b64 s[2:3], s[0:1]
	s_cbranch_execz .LBB0_11
; %bb.10:
	ds_write_b128 v255, v[84:87]
	ds_write_b128 v255, v[88:91] offset:2080
	ds_write_b128 v255, v[92:95] offset:4160
	ds_write_b128 v255, v[96:99] offset:6240
	ds_write_b128 v255, v[104:107] offset:8320
	ds_write_b128 v255, v[120:123] offset:10400
	ds_write_b128 v255, v[124:127] offset:12480
	ds_write_b128 v255, v[132:135] offset:14560
	ds_write_b128 v255, v[128:131] offset:16640
	ds_write_b128 v255, v[116:119] offset:18720
	ds_write_b128 v255, v[112:115] offset:20800
	ds_write_b128 v255, v[108:111] offset:22880
	ds_write_b128 v255, v[100:103] offset:24960
.LBB0_11:
	s_or_b64 exec, exec, s[2:3]
	s_waitcnt lgkmcnt(0)
	s_barrier
	s_and_saveexec_b64 s[8:9], s[0:1]
	s_cbranch_execz .LBB0_13
; %bb.12:
	v_mov_b32_e32 v136, s15
	v_add_co_u32_e32 v181, vcc, s14, v255
	v_addc_co_u32_e32 v182, vcc, 0, v136, vcc
	v_add_co_u32_e32 v164, vcc, 0x69a0, v181
	s_mov_b64 s[2:3], vcc
	v_add_co_u32_e32 v136, vcc, 0x6000, v181
	v_addc_co_u32_e32 v137, vcc, 0, v182, vcc
	s_movk_i32 s10, 0x7000
	v_add_co_u32_e32 v140, vcc, s10, v181
	v_addc_co_u32_e32 v141, vcc, 0, v182, vcc
	s_mov_b32 s10, 0x8000
	v_add_co_u32_e32 v148, vcc, s10, v181
	global_load_dwordx4 v[136:139], v[136:137], off offset:2464
	v_addc_co_u32_e32 v149, vcc, 0, v182, vcc
	global_load_dwordx4 v[140:143], v[140:141], off offset:2528
	s_nop 0
	global_load_dwordx4 v[144:147], v[148:149], off offset:512
	s_mov_b32 s10, 0x9000
	v_add_co_u32_e32 v156, vcc, s10, v181
	v_addc_co_u32_e32 v157, vcc, 0, v182, vcc
	s_mov_b32 s10, 0xa000
	v_add_co_u32_e32 v169, vcc, s10, v181
	global_load_dwordx4 v[148:151], v[148:149], off offset:2592
	s_nop 0
	global_load_dwordx4 v[152:155], v[156:157], off offset:576
	s_nop 0
	global_load_dwordx4 v[156:159], v[156:157], off offset:2656
	v_addc_co_u32_e32 v170, vcc, 0, v182, vcc
	v_addc_co_u32_e64 v165, vcc, 0, v182, s[2:3]
	global_load_dwordx4 v[160:163], v[169:170], off offset:640
	s_nop 0
	global_load_dwordx4 v[164:167], v[164:165], off offset:2080
	s_nop 0
	global_load_dwordx4 v[169:172], v[169:170], off offset:2720
	s_mov_b32 s2, 0xb000
	v_add_co_u32_e32 v177, vcc, s2, v181
	v_addc_co_u32_e32 v178, vcc, 0, v182, vcc
	s_mov_b32 s2, 0xc000
	global_load_dwordx4 v[173:176], v[177:178], off offset:704
	s_nop 0
	global_load_dwordx4 v[177:180], v[177:178], off offset:2784
	v_add_co_u32_e32 v185, vcc, s2, v181
	v_addc_co_u32_e32 v186, vcc, 0, v182, vcc
	global_load_dwordx4 v[181:184], v[185:186], off offset:768
	s_nop 0
	global_load_dwordx4 v[185:188], v[185:186], off offset:2848
	ds_read_b128 v[189:192], v255
	ds_read_b128 v[193:196], v255 offset:2080
	ds_read_b128 v[197:200], v255 offset:4160
	ds_read_b128 v[201:204], v255 offset:6240
	ds_read_b128 v[205:208], v255 offset:8320
	ds_read_b128 v[209:212], v255 offset:10400
	ds_read_b128 v[213:216], v255 offset:12480
	ds_read_b128 v[217:220], v255 offset:14560
	ds_read_b128 v[221:224], v255 offset:16640
	ds_read_b128 v[225:228], v255 offset:18720
	s_waitcnt vmcnt(12) lgkmcnt(9)
	v_mul_f64 v[241:242], v[191:192], v[138:139]
	v_mul_f64 v[243:244], v[189:190], v[138:139]
	s_waitcnt vmcnt(11) lgkmcnt(7)
	v_mul_f64 v[229:230], v[199:200], v[142:143]
	v_mul_f64 v[142:143], v[197:198], v[142:143]
	;; [unrolled: 3-line block ×3, first 2 shown]
	v_fma_f64 v[189:190], v[189:190], v[136:137], -v[241:242]
	v_fma_f64 v[191:192], v[191:192], v[136:137], v[243:244]
	v_fma_f64 v[138:139], v[197:198], v[140:141], -v[229:230]
	buffer_load_dword v197, off, s[52:55], 0 offset:8 ; 4-byte Folded Reload
	s_waitcnt vmcnt(10) lgkmcnt(5)
	v_mul_f64 v[233:234], v[207:208], v[150:151]
	v_mul_f64 v[150:151], v[205:206], v[150:151]
	v_fma_f64 v[140:141], v[199:200], v[140:141], v[142:143]
	s_waitcnt vmcnt(9) lgkmcnt(4)
	v_mul_f64 v[235:236], v[211:212], v[154:155]
	v_mul_f64 v[154:155], v[209:210], v[154:155]
	s_waitcnt vmcnt(6)
	v_mul_f64 v[245:246], v[195:196], v[166:167]
	v_mul_f64 v[166:167], v[193:194], v[166:167]
	v_fma_f64 v[142:143], v[201:202], v[144:145], -v[231:232]
	v_fma_f64 v[144:145], v[203:204], v[144:145], v[146:147]
	s_waitcnt lgkmcnt(3)
	v_mul_f64 v[237:238], v[215:216], v[158:159]
	v_mul_f64 v[158:159], v[213:214], v[158:159]
	v_fma_f64 v[146:147], v[205:206], v[148:149], -v[233:234]
	v_fma_f64 v[148:149], v[207:208], v[148:149], v[150:151]
	s_waitcnt lgkmcnt(2)
	v_mul_f64 v[239:240], v[219:220], v[162:163]
	v_mul_f64 v[150:151], v[217:218], v[162:163]
	s_waitcnt vmcnt(5) lgkmcnt(1)
	v_mul_f64 v[162:163], v[223:224], v[171:172]
	v_fma_f64 v[193:194], v[193:194], v[164:165], -v[245:246]
	v_fma_f64 v[195:196], v[195:196], v[164:165], v[166:167]
	v_mul_f64 v[164:165], v[221:222], v[171:172]
	ds_write_b128 v255, v[138:141] offset:4160
	ds_write_b128 v255, v[142:145] offset:6240
	;; [unrolled: 1-line block ×3, first 2 shown]
	ds_write_b128 v255, v[189:192]
	ds_write_b128 v255, v[193:196] offset:2080
	v_fma_f64 v[136:137], v[209:210], v[152:153], -v[235:236]
	v_fma_f64 v[138:139], v[211:212], v[152:153], v[154:155]
	ds_read_b128 v[152:155], v255 offset:20800
	v_fma_f64 v[140:141], v[213:214], v[156:157], -v[237:238]
	v_fma_f64 v[142:143], v[215:216], v[156:157], v[158:159]
	ds_read_b128 v[156:159], v255 offset:22880
	v_fma_f64 v[144:145], v[217:218], v[160:161], -v[239:240]
	v_fma_f64 v[146:147], v[219:220], v[160:161], v[150:151]
	v_fma_f64 v[148:149], v[221:222], v[169:170], -v[162:163]
	ds_read_b128 v[160:163], v255 offset:24960
	v_fma_f64 v[150:151], v[223:224], v[169:170], v[164:165]
	s_waitcnt vmcnt(4) lgkmcnt(8)
	v_mul_f64 v[164:165], v[227:228], v[175:176]
	v_mul_f64 v[166:167], v[225:226], v[175:176]
	s_waitcnt vmcnt(3) lgkmcnt(2)
	v_mul_f64 v[169:170], v[154:155], v[179:180]
	v_mul_f64 v[171:172], v[152:153], v[179:180]
	;; [unrolled: 3-line block ×4, first 2 shown]
	v_fma_f64 v[164:165], v[225:226], v[173:174], -v[164:165]
	v_fma_f64 v[166:167], v[227:228], v[173:174], v[166:167]
	v_fma_f64 v[152:153], v[152:153], v[177:178], -v[169:170]
	v_fma_f64 v[154:155], v[154:155], v[177:178], v[171:172]
	;; [unrolled: 2-line block ×4, first 2 shown]
	ds_write_b128 v255, v[136:139] offset:10400
	ds_write_b128 v255, v[140:143] offset:12480
	;; [unrolled: 1-line block ×8, first 2 shown]
.LBB0_13:
	s_or_b64 exec, exec, s[8:9]
	s_waitcnt vmcnt(0) lgkmcnt(0)
	s_barrier
	s_and_saveexec_b64 s[2:3], s[0:1]
	s_cbranch_execz .LBB0_15
; %bb.14:
	ds_read_b128 v[84:87], v255
	ds_read_b128 v[88:91], v255 offset:2080
	ds_read_b128 v[92:95], v255 offset:4160
	;; [unrolled: 1-line block ×12, first 2 shown]
.LBB0_15:
	s_or_b64 exec, exec, s[2:3]
	s_waitcnt lgkmcnt(0)
	v_add_f64 v[187:188], v[90:91], -v[102:103]
	s_mov_b32 s40, 0x4267c47c
	s_mov_b32 s41, 0xbfddbe06
	v_add_f64 v[169:170], v[88:89], v[100:101]
	v_add_f64 v[173:174], v[90:91], v[102:103]
	v_add_f64 v[205:206], v[94:95], -v[110:111]
	s_mov_b32 s2, 0xe00740e9
	s_mov_b32 s10, 0x42a4c3d2
	v_mul_f64 v[150:151], v[187:188], s[40:41]
	s_mov_b32 s3, 0x3fec55a7
	s_mov_b32 s11, 0xbfea55e2
	v_add_f64 v[183:184], v[88:89], -v[100:101]
	v_mul_f64 v[175:176], v[173:174], s[2:3]
	v_add_f64 v[189:190], v[92:93], v[108:109]
	v_add_f64 v[193:194], v[94:95], v[110:111]
	v_mul_f64 v[181:182], v[205:206], s[10:11]
	v_fma_f64 v[136:137], v[169:170], s[2:3], -v[150:151]
	v_add_f64 v[217:218], v[98:99], v[114:115]
	s_mov_b32 s8, 0x1ea71119
	s_mov_b32 s9, 0x3fe22d96
	;; [unrolled: 1-line block ×3, first 2 shown]
	v_fma_f64 v[138:139], v[183:184], s[40:41], v[175:176]
	v_mul_f64 v[177:178], v[187:188], s[10:11]
	v_add_f64 v[209:210], v[92:93], -v[108:109]
	v_add_f64 v[136:137], v[84:85], v[136:137]
	v_mul_f64 v[185:186], v[193:194], s[8:9]
	v_fma_f64 v[148:149], v[189:190], s[8:9], -v[181:182]
	s_mov_b32 s23, 0xbfd6b1d8
	v_mul_f64 v[152:153], v[217:218], s[22:23]
	s_mov_b32 s26, 0x2ef20147
	s_mov_b32 s27, 0xbfedeba7
	v_add_f64 v[138:139], v[86:87], v[138:139]
	v_mul_f64 v[191:192], v[173:174], s[8:9]
	v_fma_f64 v[140:141], v[169:170], s[8:9], -v[177:178]
	v_add_f64 v[136:137], v[148:149], v[136:137]
	v_fma_f64 v[148:149], v[209:210], s[10:11], v[185:186]
	v_mul_f64 v[195:196], v[205:206], s[26:27]
	buffer_store_dword v152, off, s[52:55], 0 offset:16 ; 4-byte Folded Spill
	s_nop 0
	buffer_store_dword v153, off, s[52:55], 0 offset:20 ; 4-byte Folded Spill
	s_mov_b32 s18, 0x66966769
	s_mov_b32 s19, 0xbfefc445
	v_fma_f64 v[142:143], v[183:184], s[10:11], v[191:192]
	v_add_f64 v[140:141], v[84:85], v[140:141]
	v_mul_f64 v[179:180], v[187:188], s[18:19]
	v_add_f64 v[138:139], v[148:149], v[138:139]
	v_mul_f64 v[198:199], v[193:194], s[22:23]
	v_fma_f64 v[148:149], v[189:190], s[22:23], -v[195:196]
	s_mov_b32 s16, 0xebaa3ed8
	s_mov_b32 s17, 0x3fbedb7d
	;; [unrolled: 1-line block ×4, first 2 shown]
	v_add_f64 v[142:143], v[86:87], v[142:143]
	v_mul_f64 v[225:226], v[173:174], s[16:17]
	v_fma_f64 v[144:145], v[169:170], s[16:17], -v[179:180]
	v_add_f64 v[140:141], v[148:149], v[140:141]
	v_fma_f64 v[148:149], v[209:210], s[26:27], v[198:199]
	v_mul_f64 v[200:201], v[205:206], s[24:25]
	s_mov_b32 s20, 0x93053d00
	s_mov_b32 s21, 0xbfef11f4
	v_mul_f64 v[223:224], v[193:194], s[20:21]
	v_fma_f64 v[146:147], v[183:184], s[18:19], v[225:226]
	v_add_f64 v[144:145], v[84:85], v[144:145]
	v_add_f64 v[229:230], v[98:99], -v[114:115]
	v_add_f64 v[142:143], v[148:149], v[142:143]
	v_fma_f64 v[148:149], v[189:190], s[20:21], -v[200:201]
	v_add_f64 v[211:212], v[96:97], v[112:113]
	v_add_f64 v[219:220], v[96:97], -v[112:113]
	v_mul_f64 v[207:208], v[217:218], s[16:17]
	v_add_f64 v[146:147], v[86:87], v[146:147]
	v_mul_f64 v[215:216], v[217:218], s[20:21]
	v_mul_f64 v[202:203], v[229:230], s[18:19]
	;; [unrolled: 1-line block ×3, first 2 shown]
	v_add_f64 v[144:145], v[148:149], v[144:145]
	v_fma_f64 v[148:149], v[209:210], s[24:25], v[223:224]
	s_mov_b32 s29, 0x3fedeba7
	s_mov_b32 s28, s26
	v_mul_f64 v[221:222], v[229:230], s[28:29]
	v_add_f64 v[237:238], v[106:107], v[118:119]
	v_add_f64 v[249:250], v[106:107], -v[118:119]
	v_add_f64 v[227:228], v[104:105], v[116:117]
	v_add_f64 v[233:234], v[104:105], -v[116:117]
	v_add_f64 v[146:147], v[148:149], v[146:147]
	v_fma_f64 v[148:149], v[211:212], s[16:17], -v[202:203]
	s_mov_b32 s38, 0x24c2f84
	s_mov_b32 s39, 0x3fe5384d
	;; [unrolled: 1-line block ×3, first 2 shown]
	v_mul_f64 v[231:232], v[249:250], s[26:27]
	s_mov_b32 s31, 0xbfe7f3cc
	s_mov_b32 s37, 0x3fddbe06
	;; [unrolled: 1-line block ×3, first 2 shown]
	v_add_f64 v[136:137], v[148:149], v[136:137]
	v_fma_f64 v[148:149], v[219:220], s[18:19], v[207:208]
	v_add_f64 v[158:159], v[122:123], -v[130:131]
	s_mov_b32 s43, 0xbfe5384d
	s_mov_b32 s42, s38
	v_add_f64 v[154:155], v[122:123], v[130:131]
	v_add_f64 v[247:248], v[120:121], v[128:129]
	v_add_f64 v[253:254], v[120:121], -v[128:129]
	s_mov_b32 s45, 0x3fefc445
	v_add_f64 v[138:139], v[148:149], v[138:139]
	v_fma_f64 v[148:149], v[211:212], s[20:21], -v[213:214]
	s_mov_b32 s44, s18
	v_mul_f64 v[239:240], v[158:159], s[10:11]
	v_mul_f64 v[235:236], v[154:155], s[16:17]
	;; [unrolled: 1-line block ×3, first 2 shown]
	v_add_f64 v[171:172], v[126:127], -v[134:135]
	v_add_f64 v[162:163], v[124:125], v[132:133]
	v_add_f64 v[166:167], v[126:127], v[134:135]
	v_add_f64 v[140:141], v[148:149], v[140:141]
	v_fma_f64 v[148:149], v[219:220], s[24:25], v[215:216]
	v_add_f64 v[164:165], v[124:125], -v[132:133]
	v_mul_f64 v[241:242], v[171:172], s[24:25]
	v_mul_f64 v[251:252], v[171:172], s[36:37]
	v_mul_f64 v[243:244], v[166:167], s[20:21]
	v_mul_f64 v[156:157], v[171:172], s[42:43]
	v_add_f64 v[142:143], v[148:149], v[142:143]
	v_fma_f64 v[148:149], v[211:212], s[22:23], -v[221:222]
	v_mul_f64 v[160:161], v[166:167], s[30:31]
	v_add_f64 v[144:145], v[148:149], v[144:145]
	v_fma_f64 v[148:149], v[219:220], s[28:29], v[152:153]
	v_mul_f64 v[152:153], v[237:238], s[22:23]
	buffer_store_dword v152, off, s[52:55], 0 offset:24 ; 4-byte Folded Spill
	s_nop 0
	buffer_store_dword v153, off, s[52:55], 0 offset:28 ; 4-byte Folded Spill
	v_add_f64 v[146:147], v[148:149], v[146:147]
	v_fma_f64 v[148:149], v[227:228], s[22:23], -v[231:232]
	v_add_f64 v[136:137], v[148:149], v[136:137]
	v_fma_f64 v[148:149], v[233:234], s[26:27], v[152:153]
	v_mul_f64 v[152:153], v[237:238], s[30:31]
	v_add_f64 v[138:139], v[148:149], v[138:139]
	v_mul_f64 v[148:149], v[249:250], s[38:39]
	buffer_store_dword v148, off, s[52:55], 0 offset:32 ; 4-byte Folded Spill
	s_nop 0
	buffer_store_dword v149, off, s[52:55], 0 offset:36 ; 4-byte Folded Spill
	buffer_store_dword v152, off, s[52:55], 0 offset:40 ; 4-byte Folded Spill
	s_nop 0
	buffer_store_dword v153, off, s[52:55], 0 offset:44 ; 4-byte Folded Spill
	v_fma_f64 v[148:149], v[227:228], s[30:31], -v[148:149]
	v_add_f64 v[140:141], v[148:149], v[140:141]
	v_fma_f64 v[148:149], v[233:234], s[38:39], v[152:153]
	v_mul_f64 v[152:153], v[237:238], s[2:3]
	v_add_f64 v[142:143], v[148:149], v[142:143]
	v_mul_f64 v[148:149], v[249:250], s[36:37]
	buffer_store_dword v148, off, s[52:55], 0 offset:48 ; 4-byte Folded Spill
	s_nop 0
	buffer_store_dword v149, off, s[52:55], 0 offset:52 ; 4-byte Folded Spill
	buffer_store_dword v152, off, s[52:55], 0 offset:64 ; 4-byte Folded Spill
	s_nop 0
	buffer_store_dword v153, off, s[52:55], 0 offset:68 ; 4-byte Folded Spill
	;; [unrolled: 12-line block ×3, first 2 shown]
	v_fma_f64 v[148:149], v[247:248], s[30:31], -v[148:149]
	v_add_f64 v[136:137], v[148:149], v[136:137]
	v_fma_f64 v[148:149], v[253:254], s[42:43], v[152:153]
	v_mul_f64 v[152:153], v[166:167], s[2:3]
	v_add_f64 v[138:139], v[148:149], v[138:139]
	v_mul_f64 v[148:149], v[158:159], s[44:45]
	buffer_store_dword v148, off, s[52:55], 0 offset:80 ; 4-byte Folded Spill
	s_nop 0
	buffer_store_dword v149, off, s[52:55], 0 offset:84 ; 4-byte Folded Spill
	s_waitcnt vmcnt(0)
	s_barrier
	v_fma_f64 v[148:149], v[247:248], s[16:17], -v[148:149]
	v_add_f64 v[140:141], v[148:149], v[140:141]
	v_fma_f64 v[148:149], v[253:254], s[44:45], v[235:236]
	v_add_f64 v[142:143], v[148:149], v[142:143]
	v_fma_f64 v[148:149], v[247:248], s[8:9], -v[239:240]
	v_add_f64 v[144:145], v[148:149], v[144:145]
	v_fma_f64 v[148:149], v[253:254], s[10:11], v[245:246]
	v_add_f64 v[146:147], v[148:149], v[146:147]
	;; [unrolled: 4-line block ×5, first 2 shown]
	s_and_saveexec_b64 s[34:35], s[0:1]
	s_cbranch_execz .LBB0_17
; %bb.16:
	v_mul_f64 v[148:149], v[169:170], s[2:3]
	v_add_f64 v[90:91], v[86:87], v[90:91]
	v_add_f64 v[88:89], v[84:85], v[88:89]
	buffer_store_dword v148, off, s[52:55], 0 offset:96 ; 4-byte Folded Spill
	s_nop 0
	buffer_store_dword v149, off, s[52:55], 0 offset:100 ; 4-byte Folded Spill
	v_mul_f64 v[148:149], v[183:184], s[40:41]
	s_mov_b32 s41, 0x3fea55e2
	s_mov_b32 s40, s10
	v_add_f64 v[90:91], v[90:91], v[94:95]
	v_add_f64 v[88:89], v[88:89], v[92:93]
	buffer_store_dword v148, off, s[52:55], 0 offset:128 ; 4-byte Folded Spill
	s_nop 0
	buffer_store_dword v149, off, s[52:55], 0 offset:132 ; 4-byte Folded Spill
	v_mul_f64 v[148:149], v[169:170], s[8:9]
	buffer_store_dword v148, off, s[52:55], 0 offset:104 ; 4-byte Folded Spill
	s_nop 0
	buffer_store_dword v149, off, s[52:55], 0 offset:108 ; 4-byte Folded Spill
	v_mul_f64 v[148:149], v[183:184], s[10:11]
	v_add_f64 v[90:91], v[90:91], v[98:99]
	v_add_f64 v[88:89], v[88:89], v[96:97]
	buffer_store_dword v148, off, s[52:55], 0 offset:240 ; 4-byte Folded Spill
	s_nop 0
	buffer_store_dword v149, off, s[52:55], 0 offset:244 ; 4-byte Folded Spill
	v_mul_f64 v[148:149], v[169:170], s[16:17]
	v_add_f64 v[90:91], v[90:91], v[106:107]
	v_add_f64 v[88:89], v[88:89], v[104:105]
	buffer_store_dword v148, off, s[52:55], 0 offset:144 ; 4-byte Folded Spill
	s_nop 0
	buffer_store_dword v149, off, s[52:55], 0 offset:148 ; 4-byte Folded Spill
	v_mul_f64 v[148:149], v[183:184], s[18:19]
	v_add_f64 v[88:89], v[88:89], v[120:121]
	v_add_f64 v[90:91], v[90:91], v[122:123]
	buffer_store_dword v148, off, s[52:55], 0 offset:296 ; 4-byte Folded Spill
	s_nop 0
	buffer_store_dword v149, off, s[52:55], 0 offset:300 ; 4-byte Folded Spill
	v_mul_f64 v[148:149], v[189:190], s[8:9]
	v_add_f64 v[88:89], v[88:89], v[124:125]
	v_add_f64 v[90:91], v[90:91], v[126:127]
	buffer_store_dword v148, off, s[52:55], 0 offset:112 ; 4-byte Folded Spill
	s_nop 0
	buffer_store_dword v149, off, s[52:55], 0 offset:116 ; 4-byte Folded Spill
	v_mul_f64 v[148:149], v[209:210], s[10:11]
	v_add_f64 v[90:91], v[90:91], v[134:135]
	v_add_f64 v[88:89], v[88:89], v[132:133]
	buffer_store_dword v148, off, s[52:55], 0 offset:120 ; 4-byte Folded Spill
	s_nop 0
	buffer_store_dword v149, off, s[52:55], 0 offset:124 ; 4-byte Folded Spill
	v_mul_f64 v[148:149], v[189:190], s[22:23]
	v_add_f64 v[90:91], v[90:91], v[130:131]
	v_add_f64 v[88:89], v[88:89], v[128:129]
	buffer_store_dword v148, off, s[52:55], 0 offset:136 ; 4-byte Folded Spill
	s_nop 0
	buffer_store_dword v149, off, s[52:55], 0 offset:140 ; 4-byte Folded Spill
	v_mul_f64 v[148:149], v[209:210], s[26:27]
	v_add_f64 v[90:91], v[90:91], v[118:119]
	v_add_f64 v[88:89], v[88:89], v[116:117]
	buffer_store_dword v148, off, s[52:55], 0 offset:160 ; 4-byte Folded Spill
	s_nop 0
	buffer_store_dword v149, off, s[52:55], 0 offset:164 ; 4-byte Folded Spill
	v_mul_f64 v[148:149], v[209:210], s[24:25]
	v_add_f64 v[90:91], v[90:91], v[114:115]
	v_add_f64 v[88:89], v[88:89], v[112:113]
	buffer_store_dword v148, off, s[52:55], 0 offset:288 ; 4-byte Folded Spill
	s_nop 0
	buffer_store_dword v149, off, s[52:55], 0 offset:292 ; 4-byte Folded Spill
	v_mul_f64 v[148:149], v[219:220], s[24:25]
	v_add_f64 v[110:111], v[90:91], v[110:111]
	v_add_f64 v[88:89], v[88:89], v[108:109]
	buffer_store_dword v148, off, s[52:55], 0 offset:152 ; 4-byte Folded Spill
	s_nop 0
	buffer_store_dword v149, off, s[52:55], 0 offset:156 ; 4-byte Folded Spill
	v_mul_f64 v[148:149], v[164:165], s[24:25]
	buffer_store_dword v148, off, s[52:55], 0 offset:88 ; 4-byte Folded Spill
	s_nop 0
	buffer_store_dword v149, off, s[52:55], 0 offset:92 ; 4-byte Folded Spill
	buffer_store_dword v150, off, s[52:55], 0 offset:168 ; 4-byte Folded Spill
	s_nop 0
	buffer_store_dword v151, off, s[52:55], 0 offset:172 ; 4-byte Folded Spill
	v_mul_f64 v[150:151], v[183:184], s[24:25]
	buffer_store_dword v175, off, s[52:55], 0 offset:176 ; 4-byte Folded Spill
	s_nop 0
	buffer_store_dword v176, off, s[52:55], 0 offset:180 ; 4-byte Folded Spill
	buffer_store_dword v177, off, s[52:55], 0 offset:200 ; 4-byte Folded Spill
	s_nop 0
	buffer_store_dword v178, off, s[52:55], 0 offset:204 ; 4-byte Folded Spill
	;; [unrolled: 3-line block ×6, first 2 shown]
	v_mul_f64 v[177:178], v[187:188], s[24:25]
	v_mul_f64 v[181:182], v[209:210], s[36:37]
	v_fma_f64 v[191:192], v[173:174], s[20:21], v[150:151]
	buffer_store_dword v195, off, s[52:55], 0 offset:224 ; 4-byte Folded Spill
	s_nop 0
	buffer_store_dword v196, off, s[52:55], 0 offset:228 ; 4-byte Folded Spill
	buffer_store_dword v198, off, s[52:55], 0 offset:264 ; 4-byte Folded Spill
	s_nop 0
	buffer_store_dword v199, off, s[52:55], 0 offset:268 ; 4-byte Folded Spill
	;; [unrolled: 3-line block ×5, first 2 shown]
	v_mul_f64 v[195:196], v[219:220], s[42:43]
	v_mul_f64 v[197:198], v[205:206], s[36:37]
	v_fma_f64 v[201:202], v[169:170], s[20:21], -v[177:178]
	v_fma_f64 v[207:208], v[193:194], s[2:3], v[181:182]
	v_fma_f64 v[150:151], v[173:174], s[20:21], -v[150:151]
	v_add_f64 v[191:192], v[86:87], v[191:192]
	buffer_store_dword v213, off, s[52:55], 0 offset:232 ; 4-byte Folded Spill
	s_nop 0
	buffer_store_dword v214, off, s[52:55], 0 offset:236 ; 4-byte Folded Spill
	buffer_store_dword v215, off, s[52:55], 0 offset:272 ; 4-byte Folded Spill
	s_nop 0
	buffer_store_dword v216, off, s[52:55], 0 offset:276 ; 4-byte Folded Spill
	buffer_store_dword v221, off, s[52:55], 0 offset:280 ; 4-byte Folded Spill
	s_nop 0
	buffer_store_dword v222, off, s[52:55], 0 offset:284 ; 4-byte Folded Spill
	v_mul_f64 v[179:180], v[233:234], s[40:41]
	v_fma_f64 v[213:214], v[217:218], s[30:31], v[195:196]
	v_fma_f64 v[215:216], v[189:190], s[2:3], -v[197:198]
	v_fma_f64 v[177:178], v[169:170], s[20:21], v[177:178]
	v_add_f64 v[201:202], v[84:85], v[201:202]
	v_mul_f64 v[221:222], v[229:230], s[42:43]
	v_fma_f64 v[181:182], v[193:194], s[2:3], -v[181:182]
	v_add_f64 v[150:151], v[86:87], v[150:151]
	v_add_f64 v[191:192], v[207:208], v[191:192]
	v_mul_f64 v[175:176], v[253:254], s[26:27]
	v_fma_f64 v[203:204], v[237:238], s[8:9], v[179:180]
	v_mul_f64 v[207:208], v[249:250], s[40:41]
	v_fma_f64 v[197:198], v[189:190], s[2:3], v[197:198]
	v_add_f64 v[177:178], v[84:85], v[177:178]
	v_add_f64 v[201:202], v[215:216], v[201:202]
	v_fma_f64 v[215:216], v[211:212], s[30:31], -v[221:222]
	v_fma_f64 v[195:196], v[217:218], s[30:31], -v[195:196]
	v_add_f64 v[150:151], v[181:182], v[150:151]
	v_add_f64 v[181:182], v[213:214], v[191:192]
	v_fma_f64 v[199:200], v[154:155], s[22:23], v[175:176]
	v_mul_f64 v[191:192], v[158:159], s[26:27]
	v_fma_f64 v[213:214], v[211:212], s[30:31], v[221:222]
	v_add_f64 v[177:178], v[197:198], v[177:178]
	v_fma_f64 v[197:198], v[227:228], s[8:9], -v[207:208]
	v_add_f64 v[201:202], v[215:216], v[201:202]
	v_fma_f64 v[179:180], v[237:238], s[8:9], -v[179:180]
	v_add_f64 v[150:151], v[195:196], v[150:151]
	v_add_f64 v[181:182], v[203:204], v[181:182]
	v_mul_f64 v[148:149], v[164:165], s[44:45]
	v_mul_f64 v[195:196], v[171:172], s[44:45]
	v_fma_f64 v[203:204], v[227:228], s[8:9], v[207:208]
	v_add_f64 v[177:178], v[213:214], v[177:178]
	v_fma_f64 v[207:208], v[247:248], s[22:23], -v[191:192]
	v_add_f64 v[197:198], v[197:198], v[201:202]
	v_add_f64 v[150:151], v[179:180], v[150:151]
	;; [unrolled: 1-line block ×3, first 2 shown]
	v_fma_f64 v[181:182], v[247:248], s[22:23], v[191:192]
	v_mul_f64 v[191:192], v[183:184], s[42:43]
	v_fma_f64 v[185:186], v[166:167], s[16:17], v[148:149]
	v_fma_f64 v[175:176], v[154:155], s[22:23], -v[175:176]
	v_add_f64 v[177:178], v[203:204], v[177:178]
	v_fma_f64 v[199:200], v[162:163], s[16:17], -v[195:196]
	v_add_f64 v[197:198], v[207:208], v[197:198]
	v_mul_f64 v[203:204], v[209:210], s[44:45]
	v_fma_f64 v[201:202], v[166:167], s[16:17], -v[148:149]
	v_fma_f64 v[207:208], v[173:174], s[30:31], v[191:192]
	v_fma_f64 v[195:196], v[162:163], s[16:17], v[195:196]
	v_add_f64 v[175:176], v[175:176], v[150:151]
	v_add_f64 v[150:151], v[185:186], v[179:180]
	v_mul_f64 v[185:186], v[219:220], s[10:11]
	v_add_f64 v[148:149], v[199:200], v[197:198]
	v_fma_f64 v[197:198], v[193:194], s[16:17], v[203:204]
	v_add_f64 v[181:182], v[181:182], v[177:178]
	v_add_f64 v[199:200], v[86:87], v[207:208]
	v_mul_f64 v[179:180], v[187:188], s[42:43]
	s_mov_b32 s25, 0x3fcea1e5
	v_add_f64 v[177:178], v[201:202], v[175:176]
	v_mul_f64 v[201:202], v[233:234], s[24:25]
	v_fma_f64 v[207:208], v[217:218], s[8:9], v[185:186]
	v_fma_f64 v[191:192], v[173:174], s[30:31], -v[191:192]
	v_add_f64 v[175:176], v[195:196], v[181:182]
	v_add_f64 v[197:198], v[197:198], v[199:200]
	v_mul_f64 v[181:182], v[205:206], s[44:45]
	v_fma_f64 v[195:196], v[169:170], s[30:31], -v[179:180]
	v_mul_f64 v[221:222], v[253:254], s[36:37]
	v_mul_f64 v[199:200], v[229:230], s[10:11]
	v_fma_f64 v[203:204], v[193:194], s[16:17], -v[203:204]
	v_add_f64 v[191:192], v[86:87], v[191:192]
	v_fma_f64 v[179:180], v[169:170], s[30:31], v[179:180]
	v_add_f64 v[197:198], v[207:208], v[197:198]
	v_fma_f64 v[207:208], v[237:238], s[20:21], v[201:202]
	v_fma_f64 v[213:214], v[189:190], s[16:17], -v[181:182]
	v_add_f64 v[195:196], v[84:85], v[195:196]
	v_fma_f64 v[181:182], v[189:190], s[16:17], v[181:182]
	v_fma_f64 v[185:186], v[217:218], s[8:9], -v[185:186]
	v_add_f64 v[191:192], v[203:204], v[191:192]
	v_add_f64 v[179:180], v[84:85], v[179:180]
	v_mul_f64 v[203:204], v[249:250], s[24:25]
	v_add_f64 v[197:198], v[207:208], v[197:198]
	v_fma_f64 v[207:208], v[154:155], s[2:3], v[221:222]
	v_add_f64 v[195:196], v[213:214], v[195:196]
	v_fma_f64 v[213:214], v[211:212], s[8:9], -v[199:200]
	v_fma_f64 v[199:200], v[211:212], s[8:9], v[199:200]
	v_add_f64 v[185:186], v[185:186], v[191:192]
	v_add_f64 v[179:180], v[181:182], v[179:180]
	v_fma_f64 v[181:182], v[227:228], s[20:21], -v[203:204]
	v_mul_f64 v[191:192], v[158:159], s[36:37]
	v_add_f64 v[197:198], v[207:208], v[197:198]
	v_mul_f64 v[207:208], v[211:212], s[16:17]
	v_add_f64 v[195:196], v[213:214], v[195:196]
	v_mul_f64 v[213:214], v[164:165], s[26:27]
	v_fma_f64 v[201:202], v[237:238], s[20:21], -v[201:202]
	buffer_store_dword v207, off, s[52:55], 0 offset:312 ; 4-byte Folded Spill
	s_nop 0
	buffer_store_dword v208, off, s[52:55], 0 offset:316 ; 4-byte Folded Spill
	v_mov_b32_e32 v207, v231
	v_mov_b32_e32 v208, v232
	;; [unrolled: 1-line block ×3, first 2 shown]
	v_fma_f64 v[203:204], v[227:228], s[20:21], v[203:204]
	v_add_f64 v[179:180], v[199:200], v[179:180]
	v_fma_f64 v[199:200], v[166:167], s[22:23], v[213:214]
	v_add_f64 v[181:182], v[181:182], v[195:196]
	v_fma_f64 v[195:196], v[247:248], s[2:3], -v[191:192]
	v_mov_b32_e32 v231, v223
	v_mul_f64 v[223:224], v[183:184], s[26:27]
	v_add_f64 v[183:184], v[201:202], v[185:186]
	v_fma_f64 v[185:186], v[154:155], s[2:3], -v[221:222]
	v_mul_f64 v[201:202], v[171:172], s[26:27]
	v_add_f64 v[179:180], v[203:204], v[179:180]
	v_fma_f64 v[191:192], v[247:248], s[2:3], v[191:192]
	v_add_f64 v[195:196], v[195:196], v[181:182]
	v_add_f64 v[181:182], v[199:200], v[197:198]
	v_fma_f64 v[197:198], v[166:167], s[22:23], -v[213:214]
	v_mul_f64 v[187:188], v[187:188], s[26:27]
	v_add_f64 v[183:184], v[185:186], v[183:184]
	v_fma_f64 v[185:186], v[162:163], s[22:23], -v[201:202]
	v_mul_f64 v[203:204], v[209:210], s[38:39]
	v_fma_f64 v[209:210], v[173:174], s[22:23], v[223:224]
	v_add_f64 v[191:192], v[191:192], v[179:180]
	v_fma_f64 v[173:174], v[173:174], s[22:23], -v[223:224]
	v_mul_f64 v[213:214], v[219:220], s[36:37]
	v_mul_f64 v[223:224], v[229:230], s[36:37]
	;; [unrolled: 1-line block ×3, first 2 shown]
	v_add_f64 v[179:180], v[185:186], v[195:196]
	v_add_f64 v[185:186], v[197:198], v[183:184]
	v_mul_f64 v[197:198], v[205:206], s[38:39]
	v_fma_f64 v[205:206], v[169:170], s[22:23], -v[187:188]
	v_fma_f64 v[199:200], v[193:194], s[30:31], v[203:204]
	v_add_f64 v[209:210], v[86:87], v[209:210]
	v_fma_f64 v[193:194], v[193:194], s[30:31], -v[203:204]
	v_add_f64 v[173:174], v[86:87], v[173:174]
	v_mul_f64 v[195:196], v[233:234], s[18:19]
	v_fma_f64 v[169:170], v[169:170], s[22:23], v[187:188]
	v_fma_f64 v[221:222], v[189:190], s[30:31], -v[197:198]
	v_add_f64 v[205:206], v[84:85], v[205:206]
	v_mul_f64 v[215:216], v[189:190], s[20:21]
	v_add_f64 v[199:200], v[199:200], v[209:210]
	v_fma_f64 v[209:210], v[217:218], s[2:3], v[213:214]
	v_fma_f64 v[213:214], v[217:218], s[2:3], -v[213:214]
	v_add_f64 v[173:174], v[193:194], v[173:174]
	v_fma_f64 v[193:194], v[227:228], s[16:17], -v[229:230]
	v_fma_f64 v[189:190], v[189:190], s[30:31], v[197:198]
	v_add_f64 v[205:206], v[221:222], v[205:206]
	v_fma_f64 v[221:222], v[211:212], s[2:3], -v[223:224]
	v_add_f64 v[169:170], v[84:85], v[169:170]
	v_add_f64 v[199:200], v[209:210], v[199:200]
	v_fma_f64 v[209:210], v[237:238], s[16:17], v[195:196]
	v_fma_f64 v[195:196], v[237:238], s[16:17], -v[195:196]
	v_add_f64 v[173:174], v[213:214], v[173:174]
	v_mul_f64 v[197:198], v[164:165], s[40:41]
	v_mul_f64 v[249:250], v[253:254], s[10:11]
	v_add_f64 v[205:206], v[221:222], v[205:206]
	v_mul_f64 v[221:222], v[253:254], s[24:25]
	v_add_f64 v[169:170], v[189:190], v[169:170]
	v_fma_f64 v[201:202], v[162:163], s[22:23], v[201:202]
	v_mul_f64 v[203:204], v[211:212], s[22:23]
	v_add_f64 v[173:174], v[195:196], v[173:174]
	v_fma_f64 v[189:190], v[166:167], s[8:9], v[197:198]
	v_fma_f64 v[166:167], v[166:167], s[8:9], -v[197:198]
	v_add_f64 v[193:194], v[193:194], v[205:206]
	v_fma_f64 v[205:206], v[154:155], s[20:21], v[221:222]
	v_fma_f64 v[154:155], v[154:155], s[20:21], -v[221:222]
	v_mul_f64 v[195:196], v[253:254], s[42:43]
	v_mul_f64 v[197:198], v[253:254], s[44:45]
	buffer_load_dword v253, off, s[52:55], 0 offset:296 ; 4-byte Folded Reload
	buffer_load_dword v254, off, s[52:55], 0 offset:300 ; 4-byte Folded Reload
	v_add_f64 v[183:184], v[201:202], v[191:192]
	v_mul_f64 v[201:202], v[211:212], s[20:21]
	v_fma_f64 v[211:212], v[211:212], s[2:3], v[223:224]
	v_add_f64 v[199:200], v[209:210], v[199:200]
	v_add_f64 v[154:155], v[154:155], v[173:174]
	v_mul_f64 v[209:210], v[227:228], s[22:23]
	v_mul_f64 v[237:238], v[227:228], s[30:31]
	;; [unrolled: 1-line block ×4, first 2 shown]
	v_fma_f64 v[227:228], v[227:228], s[16:17], v[229:230]
	v_add_f64 v[169:170], v[211:212], v[169:170]
	v_mul_f64 v[171:172], v[171:172], s[40:41]
	v_add_f64 v[154:155], v[166:167], v[154:155]
	buffer_load_dword v166, off, s[52:55], 0 offset:288 ; 4-byte Folded Reload
	buffer_load_dword v167, off, s[52:55], 0 offset:292 ; 4-byte Folded Reload
	v_mul_f64 v[221:222], v[247:248], s[30:31]
	v_mul_f64 v[223:224], v[247:248], s[16:17]
	v_fma_f64 v[229:230], v[247:248], s[20:21], -v[158:159]
	v_fma_f64 v[158:159], v[247:248], s[20:21], v[158:159]
	v_add_f64 v[169:170], v[227:228], v[169:170]
	v_mul_f64 v[173:174], v[247:248], s[8:9]
	v_mul_f64 v[211:212], v[162:163], s[20:21]
	v_fma_f64 v[247:248], v[162:163], s[8:9], -v[171:172]
	v_mul_f64 v[191:192], v[219:220], s[18:19]
	v_mul_f64 v[219:220], v[219:220], s[28:29]
	v_add_f64 v[193:194], v[229:230], v[193:194]
	v_mul_f64 v[229:230], v[162:163], s[30:31]
	v_add_f64 v[158:159], v[158:159], v[169:170]
	v_mul_f64 v[217:218], v[233:234], s[26:27]
	v_mul_f64 v[187:188], v[233:234], s[38:39]
	v_mul_f64 v[233:234], v[233:234], s[36:37]
	v_add_f64 v[96:97], v[245:246], -v[249:250]
	v_add_f64 v[199:200], v[205:206], v[199:200]
	v_mul_f64 v[205:206], v[164:165], s[36:37]
	v_add_f64 v[120:121], v[229:230], v[156:157]
	v_mul_f64 v[164:165], v[164:165], s[42:43]
	v_add_f64 v[130:131], v[209:210], v[207:208]
	v_add_f64 v[122:123], v[173:174], v[239:240]
	v_add_f64 v[104:105], v[160:161], -v[164:165]
	s_waitcnt vmcnt(2)
	v_add_f64 v[253:254], v[225:226], -v[253:254]
	v_mul_f64 v[225:226], v[162:163], s[2:3]
	v_fma_f64 v[162:163], v[162:163], s[8:9], v[171:172]
	v_add_f64 v[227:228], v[86:87], v[253:254]
	v_add_f64 v[112:113], v[225:226], v[251:252]
	s_waitcnt vmcnt(0)
	v_add_f64 v[166:167], v[231:232], -v[166:167]
	buffer_load_dword v171, off, s[52:55], 0 offset:240 ; 4-byte Folded Reload
	buffer_load_dword v172, off, s[52:55], 0 offset:244 ; 4-byte Folded Reload
	;; [unrolled: 1-line block ×6, first 2 shown]
	v_add_f64 v[166:167], v[166:167], v[227:228]
	s_waitcnt vmcnt(2)
	v_add_f64 v[171:172], v[231:232], -v[171:172]
	s_waitcnt vmcnt(0)
	v_add_f64 v[169:170], v[169:170], -v[219:220]
	buffer_load_dword v219, off, s[52:55], 0 offset:144 ; 4-byte Folded Reload
	buffer_load_dword v220, off, s[52:55], 0 offset:148 ; 4-byte Folded Reload
	buffer_load_dword v231, off, s[52:55], 0 offset:256 ; 4-byte Folded Reload
	buffer_load_dword v232, off, s[52:55], 0 offset:260 ; 4-byte Folded Reload
	v_add_f64 v[171:172], v[86:87], v[171:172]
	v_add_f64 v[166:167], v[169:170], v[166:167]
	s_waitcnt vmcnt(0)
	v_add_f64 v[219:220], v[219:220], v[231:232]
	buffer_load_dword v227, off, s[52:55], 0 offset:160 ; 4-byte Folded Reload
	buffer_load_dword v228, off, s[52:55], 0 offset:164 ; 4-byte Folded Reload
	;; [unrolled: 1-line block ×8, first 2 shown]
	s_waitcnt vmcnt(4)
	v_add_f64 v[227:228], v[231:232], -v[227:228]
	s_waitcnt vmcnt(2)
	v_add_f64 v[92:93], v[92:93], -v[233:234]
	s_waitcnt vmcnt(0)
	v_add_f64 v[94:95], v[215:216], v[94:95]
	v_add_f64 v[215:216], v[84:85], v[219:220]
	buffer_load_dword v169, off, s[52:55], 0 offset:152 ; 4-byte Folded Reload
	buffer_load_dword v170, off, s[52:55], 0 offset:156 ; 4-byte Folded Reload
	;; [unrolled: 1-line block ×6, first 2 shown]
	v_add_f64 v[171:172], v[227:228], v[171:172]
	v_add_f64 v[92:93], v[92:93], v[166:167]
	buffer_load_dword v166, off, s[52:55], 0 offset:40 ; 4-byte Folded Reload
	buffer_load_dword v167, off, s[52:55], 0 offset:44 ; 4-byte Folded Reload
	;; [unrolled: 1-line block ×4, first 2 shown]
	v_add_f64 v[94:95], v[94:95], v[215:216]
	v_add_f64 v[92:93], v[96:97], v[92:93]
	v_add_f64 v[96:97], v[235:236], -v[197:198]
	buffer_load_dword v197, off, s[52:55], 0 offset:8 ; 4-byte Folded Reload
	s_waitcnt vmcnt(7)
	v_add_f64 v[169:170], v[219:220], -v[169:170]
	s_waitcnt vmcnt(5)
	v_add_f64 v[98:99], v[203:204], v[98:99]
	s_waitcnt vmcnt(3)
	v_add_f64 v[166:167], v[166:167], -v[187:188]
	s_waitcnt vmcnt(1)
	v_add_f64 v[106:107], v[213:214], v[106:107]
	v_add_f64 v[169:170], v[169:170], v[171:172]
	;; [unrolled: 1-line block ×5, first 2 shown]
	v_add_f64 v[106:107], v[152:153], -v[205:206]
	buffer_load_dword v152, off, s[52:55], 0 offset:128 ; 4-byte Folded Reload
	buffer_load_dword v153, off, s[52:55], 0 offset:132 ; 4-byte Folded Reload
	;; [unrolled: 1-line block ×4, first 2 shown]
	v_add_f64 v[96:97], v[96:97], v[98:99]
	buffer_load_dword v98, off, s[52:55], 0 offset:96 ; 4-byte Folded Reload
	buffer_load_dword v99, off, s[52:55], 0 offset:100 ; 4-byte Folded Reload
	;; [unrolled: 1-line block ×4, first 2 shown]
	v_add_f64 v[90:91], v[106:107], v[96:97]
	v_add_f64 v[96:97], v[88:89], v[100:101]
	;; [unrolled: 1-line block ×3, first 2 shown]
	s_waitcnt vmcnt(4)
	v_add_f64 v[152:153], v[156:157], -v[152:153]
	s_waitcnt vmcnt(0)
	v_add_f64 v[98:99], v[98:99], v[124:125]
	buffer_load_dword v124, off, s[52:55], 0 offset:104 ; 4-byte Folded Reload
	buffer_load_dword v125, off, s[52:55], 0 offset:108 ; 4-byte Folded Reload
	;; [unrolled: 1-line block ×4, first 2 shown]
	v_add_f64 v[86:87], v[86:87], v[152:153]
	v_add_f64 v[98:99], v[84:85], v[98:99]
	s_waitcnt vmcnt(0)
	v_add_f64 v[124:125], v[124:125], v[126:127]
	buffer_load_dword v126, off, s[52:55], 0 offset:136 ; 4-byte Folded Reload
	buffer_load_dword v127, off, s[52:55], 0 offset:140 ; 4-byte Folded Reload
	;; [unrolled: 1-line block ×4, first 2 shown]
	v_add_f64 v[84:85], v[84:85], v[124:125]
	s_waitcnt vmcnt(0)
	v_add_f64 v[126:127], v[126:127], v[156:157]
	buffer_load_dword v156, off, s[52:55], 0 offset:120 ; 4-byte Folded Reload
	buffer_load_dword v157, off, s[52:55], 0 offset:124 ; 4-byte Folded Reload
	;; [unrolled: 1-line block ×4, first 2 shown]
	v_add_f64 v[84:85], v[126:127], v[84:85]
	s_waitcnt vmcnt(0)
	v_add_f64 v[156:157], v[160:161], -v[156:157]
	buffer_load_dword v152, off, s[52:55], 0 offset:112 ; 4-byte Folded Reload
	buffer_load_dword v153, off, s[52:55], 0 offset:116 ; 4-byte Folded Reload
	;; [unrolled: 1-line block ×8, first 2 shown]
	v_add_f64 v[86:87], v[156:157], v[86:87]
	buffer_load_dword v134, off, s[52:55], 0 offset:184 ; 4-byte Folded Reload
	buffer_load_dword v135, off, s[52:55], 0 offset:188 ; 4-byte Folded Reload
	buffer_load_dword v156, off, s[52:55], 0 offset:312 ; 4-byte Folded Reload
	buffer_load_dword v157, off, s[52:55], 0 offset:316 ; 4-byte Folded Reload
	buffer_load_dword v126, off, s[52:55], 0 offset:32 ; 4-byte Folded Reload
	buffer_load_dword v127, off, s[52:55], 0 offset:36 ; 4-byte Folded Reload
	buffer_load_dword v128, off, s[52:55], 0 offset:24 ; 4-byte Folded Reload
	buffer_load_dword v129, off, s[52:55], 0 offset:28 ; 4-byte Folded Reload
	buffer_load_dword v116, off, s[52:55], 0 offset:80 ; 4-byte Folded Reload
	buffer_load_dword v117, off, s[52:55], 0 offset:84 ; 4-byte Folded Reload
	buffer_load_dword v118, off, s[52:55], 0 offset:72 ; 4-byte Folded Reload
	buffer_load_dword v119, off, s[52:55], 0 offset:76 ; 4-byte Folded Reload
	s_waitcnt vmcnt(16)
	v_add_f64 v[152:153], v[152:153], v[160:161]
	s_waitcnt vmcnt(14)
	v_add_f64 v[124:125], v[201:202], v[124:125]
	s_waitcnt vmcnt(12)
	v_add_f64 v[132:133], v[132:133], -v[191:192]
	s_waitcnt vmcnt(8)
	v_add_f64 v[134:135], v[156:157], v[134:135]
	v_add_f64 v[84:85], v[124:125], v[84:85]
	buffer_load_dword v124, off, s[52:55], 0 offset:56 ; 4-byte Folded Reload
	buffer_load_dword v125, off, s[52:55], 0 offset:60 ; 4-byte Folded Reload
	s_waitcnt vmcnt(6)
	v_add_f64 v[128:129], v[128:129], -v[217:218]
	v_add_f64 v[86:87], v[132:133], v[86:87]
	buffer_load_dword v114, off, s[52:55], 0 offset:88 ; 4-byte Folded Reload
	buffer_load_dword v115, off, s[52:55], 0 offset:92 ; 4-byte Folded Reload
	s_waitcnt vmcnt(4)
	v_add_f64 v[118:119], v[118:119], -v[195:196]
	v_add_f64 v[98:99], v[152:153], v[98:99]
	v_add_f64 v[126:127], v[237:238], v[126:127]
	;; [unrolled: 1-line block ×10, first 2 shown]
	buffer_load_dword v104, off, s[52:55], 0 offset:12 ; 4-byte Folded Reload
	v_add_f64 v[98:99], v[130:131], v[98:99]
	v_add_f64 v[84:85], v[116:117], v[84:85]
	;; [unrolled: 1-line block ×5, first 2 shown]
	s_waitcnt vmcnt(3)
	v_add_f64 v[124:125], v[221:222], v[124:125]
	s_waitcnt vmcnt(1)
	v_add_f64 v[114:115], v[243:244], -v[114:115]
	v_add_f64 v[108:109], v[124:125], v[98:99]
	v_add_f64 v[98:99], v[110:111], v[102:103]
	;; [unrolled: 1-line block ×5, first 2 shown]
	s_waitcnt vmcnt(0)
	v_lshlrev_b32_e32 v104, 4, v104
	ds_write_b128 v104, v[96:99]
	ds_write_b128 v104, v[92:95] offset:16
	ds_write_b128 v104, v[88:91] offset:32
	;; [unrolled: 1-line block ×12, first 2 shown]
.LBB0_17:
	s_or_b64 exec, exec, s[34:35]
	s_waitcnt lgkmcnt(0)
	s_barrier
	ds_read_b128 v[84:87], v255
	ds_read_b128 v[88:91], v255 offset:2704
	ds_read_b128 v[92:95], v255 offset:5408
	;; [unrolled: 1-line block ×5, first 2 shown]
	s_waitcnt lgkmcnt(4)
	v_mul_f64 v[124:125], v[34:35], v[90:91]
	v_mul_f64 v[34:35], v[34:35], v[88:89]
	s_waitcnt lgkmcnt(3)
	v_mul_f64 v[126:127], v[26:27], v[94:95]
	v_mul_f64 v[26:27], v[26:27], v[92:93]
	ds_read_b128 v[108:111], v255 offset:16224
	ds_read_b128 v[112:115], v255 offset:18928
	;; [unrolled: 1-line block ×4, first 2 shown]
	s_mov_b32 s8, 0x134454ff
	s_mov_b32 s9, 0xbfee6f0e
	v_fma_f64 v[88:89], v[32:33], v[88:89], v[124:125]
	v_fma_f64 v[32:33], v[32:33], v[90:91], -v[34:35]
	s_waitcnt lgkmcnt(6)
	v_mul_f64 v[34:35], v[18:19], v[98:99]
	v_mul_f64 v[18:19], v[18:19], v[96:97]
	v_fma_f64 v[90:91], v[24:25], v[92:93], v[126:127]
	s_waitcnt lgkmcnt(5)
	v_mul_f64 v[92:93], v[14:15], v[102:103]
	v_fma_f64 v[24:25], v[24:25], v[94:95], -v[26:27]
	v_mul_f64 v[14:15], v[14:15], v[100:101]
	s_waitcnt lgkmcnt(4)
	v_mul_f64 v[26:27], v[46:47], v[106:107]
	s_waitcnt lgkmcnt(3)
	v_mul_f64 v[94:95], v[38:39], v[110:111]
	v_fma_f64 v[34:35], v[16:17], v[96:97], v[34:35]
	v_fma_f64 v[16:17], v[16:17], v[98:99], -v[18:19]
	v_mul_f64 v[18:19], v[46:47], v[104:105]
	v_fma_f64 v[46:47], v[12:13], v[100:101], v[92:93]
	v_add_f64 v[92:93], v[84:85], v[90:91]
	v_fma_f64 v[12:13], v[12:13], v[102:103], -v[14:15]
	v_fma_f64 v[14:15], v[44:45], v[104:105], v[26:27]
	v_fma_f64 v[26:27], v[36:37], v[108:109], v[94:95]
	s_waitcnt lgkmcnt(1)
	v_mul_f64 v[94:95], v[42:43], v[116:117]
	v_mul_f64 v[42:43], v[42:43], v[118:119]
	v_fma_f64 v[18:19], v[44:45], v[106:107], -v[18:19]
	v_mul_f64 v[38:39], v[38:39], v[108:109]
	v_add_f64 v[44:45], v[92:93], v[46:47]
	v_mul_f64 v[92:93], v[30:31], v[114:115]
	v_mul_f64 v[30:31], v[30:31], v[112:113]
	v_add_f64 v[96:97], v[46:47], v[26:27]
	v_fma_f64 v[94:95], v[40:41], v[118:119], -v[94:95]
	v_fma_f64 v[40:41], v[40:41], v[116:117], v[42:43]
	s_waitcnt lgkmcnt(0)
	v_mul_f64 v[42:43], v[50:51], v[122:123]
	v_mul_f64 v[50:51], v[50:51], v[120:121]
	v_fma_f64 v[36:37], v[36:37], v[110:111], -v[38:39]
	v_fma_f64 v[38:39], v[28:29], v[112:113], v[92:93]
	v_fma_f64 v[28:29], v[28:29], v[114:115], -v[30:31]
	v_fma_f64 v[92:93], v[96:97], -0.5, v[84:85]
	v_add_f64 v[96:97], v[24:25], -v[94:95]
	v_add_f64 v[100:101], v[90:91], -v[46:47]
	v_fma_f64 v[30:31], v[48:49], v[120:121], v[42:43]
	v_fma_f64 v[42:43], v[48:49], v[122:123], -v[50:51]
	v_add_f64 v[48:49], v[90:91], v[40:41]
	v_add_f64 v[102:103], v[40:41], -v[26:27]
	s_mov_b32 s3, 0x3fee6f0e
	s_mov_b32 s2, s8
	v_add_f64 v[44:45], v[44:45], v[26:27]
	v_fma_f64 v[50:51], v[96:97], s[8:9], v[92:93]
	v_add_f64 v[98:99], v[12:13], -v[36:37]
	v_fma_f64 v[92:93], v[96:97], s[2:3], v[92:93]
	v_fma_f64 v[48:49], v[48:49], -0.5, v[84:85]
	v_add_f64 v[84:85], v[100:101], v[102:103]
	v_add_f64 v[100:101], v[12:13], v[36:37]
	s_mov_b32 s18, 0x4755a5e
	s_mov_b32 s19, 0xbfe2cf23
	;; [unrolled: 1-line block ×4, first 2 shown]
	v_add_f64 v[44:45], v[44:45], v[40:41]
	v_fma_f64 v[50:51], v[98:99], s[18:19], v[50:51]
	v_fma_f64 v[92:93], v[98:99], s[10:11], v[92:93]
	;; [unrolled: 1-line block ×3, first 2 shown]
	v_add_f64 v[104:105], v[46:47], -v[90:91]
	v_add_f64 v[106:107], v[26:27], -v[40:41]
	v_add_f64 v[108:109], v[86:87], v[24:25]
	v_fma_f64 v[100:101], v[100:101], -0.5, v[86:87]
	v_add_f64 v[40:41], v[90:91], -v[40:41]
	s_mov_b32 s16, 0x372fe950
	s_mov_b32 s17, 0x3fd3c6ef
	v_fma_f64 v[50:51], v[84:85], s[16:17], v[50:51]
	v_fma_f64 v[90:91], v[84:85], s[16:17], v[92:93]
	v_fma_f64 v[84:85], v[96:97], s[18:19], v[102:103]
	v_add_f64 v[92:93], v[104:105], v[106:107]
	v_fma_f64 v[48:49], v[98:99], s[8:9], v[48:49]
	v_add_f64 v[98:99], v[108:109], v[12:13]
	v_fma_f64 v[102:103], v[40:41], s[2:3], v[100:101]
	v_add_f64 v[26:27], v[46:47], -v[26:27]
	v_add_f64 v[46:47], v[24:25], -v[12:13]
	;; [unrolled: 1-line block ×3, first 2 shown]
	v_fma_f64 v[100:101], v[40:41], s[8:9], v[100:101]
	v_add_f64 v[106:107], v[24:25], v[94:95]
	v_fma_f64 v[48:49], v[96:97], s[10:11], v[48:49]
	v_add_f64 v[96:97], v[98:99], v[36:37]
	v_add_f64 v[98:99], v[14:15], v[38:39]
	v_fma_f64 v[102:103], v[26:27], s[10:11], v[102:103]
	v_fma_f64 v[84:85], v[92:93], s[16:17], v[84:85]
	v_add_f64 v[46:47], v[46:47], v[104:105]
	v_fma_f64 v[100:101], v[26:27], s[18:19], v[100:101]
	v_fma_f64 v[86:87], v[106:107], -0.5, v[86:87]
	v_fma_f64 v[92:93], v[92:93], s[16:17], v[48:49]
	v_add_f64 v[48:49], v[88:89], v[34:35]
	v_fma_f64 v[98:99], v[98:99], -0.5, v[88:89]
	v_add_f64 v[104:105], v[16:17], -v[42:43]
	v_add_f64 v[12:13], v[12:13], -v[24:25]
	v_fma_f64 v[102:103], v[46:47], s[16:17], v[102:103]
	v_fma_f64 v[100:101], v[46:47], s[16:17], v[100:101]
	;; [unrolled: 1-line block ×3, first 2 shown]
	v_add_f64 v[24:25], v[36:37], -v[94:95]
	v_fma_f64 v[26:27], v[26:27], s[2:3], v[86:87]
	v_add_f64 v[96:97], v[96:97], v[94:95]
	v_add_f64 v[36:37], v[48:49], v[14:15]
	v_fma_f64 v[48:49], v[104:105], s[8:9], v[98:99]
	v_add_f64 v[86:87], v[18:19], -v[28:29]
	v_add_f64 v[94:95], v[34:35], -v[14:15]
	;; [unrolled: 1-line block ×3, first 2 shown]
	v_add_f64 v[108:109], v[34:35], v[30:31]
	v_fma_f64 v[46:47], v[40:41], s[10:11], v[46:47]
	v_add_f64 v[110:111], v[18:19], v[28:29]
	v_add_f64 v[12:13], v[12:13], v[24:25]
	v_fma_f64 v[24:25], v[40:41], s[18:19], v[26:27]
	v_add_f64 v[26:27], v[36:37], v[38:39]
	v_fma_f64 v[36:37], v[86:87], s[18:19], v[48:49]
	v_add_f64 v[40:41], v[94:95], v[106:107]
	v_fma_f64 v[48:49], v[108:109], -0.5, v[88:89]
	v_fma_f64 v[88:89], v[104:105], s[2:3], v[98:99]
	v_fma_f64 v[94:95], v[110:111], -0.5, v[32:33]
	v_add_f64 v[98:99], v[34:35], -v[30:31]
	v_fma_f64 v[46:47], v[12:13], s[16:17], v[46:47]
	v_fma_f64 v[106:107], v[12:13], s[16:17], v[24:25]
	v_add_f64 v[12:13], v[16:17], v[42:43]
	v_add_f64 v[108:109], v[26:27], v[30:31]
	v_fma_f64 v[26:27], v[40:41], s[16:17], v[36:37]
	v_fma_f64 v[36:37], v[86:87], s[10:11], v[88:89]
	v_add_f64 v[110:111], v[14:15], -v[38:39]
	v_fma_f64 v[88:89], v[98:99], s[2:3], v[94:95]
	v_add_f64 v[112:113], v[16:17], -v[18:19]
	v_add_f64 v[114:115], v[42:43], -v[28:29]
	v_fma_f64 v[12:13], v[12:13], -0.5, v[32:33]
	v_add_f64 v[32:33], v[32:33], v[16:17]
	v_fma_f64 v[24:25], v[86:87], s[2:3], v[48:49]
	v_add_f64 v[14:15], v[14:15], -v[34:35]
	v_add_f64 v[30:31], v[38:39], -v[30:31]
	v_fma_f64 v[34:35], v[86:87], s[8:9], v[48:49]
	v_fma_f64 v[38:39], v[110:111], s[10:11], v[88:89]
	v_add_f64 v[48:49], v[112:113], v[114:115]
	v_fma_f64 v[86:87], v[110:111], s[8:9], v[12:13]
	v_add_f64 v[16:17], v[18:19], -v[16:17]
	v_add_f64 v[88:89], v[28:29], -v[42:43]
	v_fma_f64 v[12:13], v[110:111], s[2:3], v[12:13]
	v_add_f64 v[18:19], v[32:33], v[18:19]
	v_fma_f64 v[32:33], v[98:99], s[8:9], v[94:95]
	v_fma_f64 v[24:25], v[104:105], s[18:19], v[24:25]
	v_add_f64 v[14:15], v[14:15], v[30:31]
	v_fma_f64 v[30:31], v[104:105], s[10:11], v[34:35]
	v_fma_f64 v[34:35], v[48:49], s[16:17], v[38:39]
	;; [unrolled: 1-line block ×3, first 2 shown]
	v_add_f64 v[16:17], v[16:17], v[88:89]
	v_fma_f64 v[12:13], v[98:99], s[18:19], v[12:13]
	v_add_f64 v[18:19], v[18:19], v[28:29]
	v_fma_f64 v[28:29], v[110:111], s[18:19], v[32:33]
	v_fma_f64 v[32:33], v[40:41], s[16:17], v[36:37]
	;; [unrolled: 1-line block ×4, first 2 shown]
	v_mul_f64 v[30:31], v[34:35], s[18:19]
	v_fma_f64 v[36:37], v[16:17], s[16:17], v[38:39]
	v_fma_f64 v[16:17], v[16:17], s[16:17], v[12:13]
	v_add_f64 v[38:39], v[18:19], v[42:43]
	v_fma_f64 v[18:19], v[48:49], s[16:17], v[28:29]
	s_mov_b32 s20, 0x9b97f4a8
	s_mov_b32 s21, 0x3fe9e377
	v_mul_f64 v[34:35], v[34:35], s[20:21]
	v_fma_f64 v[40:41], v[26:27], s[20:21], v[30:31]
	v_mul_f64 v[28:29], v[36:37], s[8:9]
	v_mul_f64 v[30:31], v[16:17], s[8:9]
	s_mov_b32 s9, 0xbfd3c6ef
	s_mov_b32 s8, s16
	v_mul_f64 v[42:43], v[18:19], s[18:19]
	s_mov_b32 s19, 0xbfe9e377
	s_mov_b32 s18, s20
	v_mul_f64 v[36:37], v[36:37], s[16:17]
	v_mul_f64 v[48:49], v[16:17], s[8:9]
	;; [unrolled: 1-line block ×3, first 2 shown]
	v_fma_f64 v[86:87], v[24:25], s[16:17], v[28:29]
	v_fma_f64 v[88:89], v[14:15], s[8:9], v[30:31]
	;; [unrolled: 1-line block ×4, first 2 shown]
	v_add_f64 v[12:13], v[44:45], v[108:109]
	v_fma_f64 v[98:99], v[24:25], s[2:3], v[36:37]
	v_fma_f64 v[104:105], v[14:15], s[2:3], v[48:49]
	;; [unrolled: 1-line block ×3, first 2 shown]
	v_add_f64 v[16:17], v[50:51], v[40:41]
	v_add_f64 v[24:25], v[84:85], v[86:87]
	;; [unrolled: 1-line block ×9, first 2 shown]
	v_add_f64 v[36:37], v[44:45], -v[108:109]
	v_add_f64 v[48:49], v[50:51], -v[40:41]
	v_add_f64 v[84:85], v[84:85], -v[86:87]
	v_add_f64 v[44:45], v[92:93], -v[88:89]
	v_add_f64 v[40:41], v[90:91], -v[42:43]
	v_add_f64 v[38:39], v[96:97], -v[38:39]
	v_add_f64 v[50:51], v[102:103], -v[94:95]
	v_add_f64 v[86:87], v[46:47], -v[98:99]
	v_add_f64 v[46:47], v[106:107], -v[104:105]
	v_add_f64 v[42:43], v[100:101], -v[110:111]
	s_barrier
	ds_write_b128 v168, v[12:15]
	ds_write_b128 v168, v[16:19] offset:208
	ds_write_b128 v168, v[24:27] offset:416
	;; [unrolled: 1-line block ×9, first 2 shown]
	s_waitcnt lgkmcnt(0)
	s_barrier
	s_and_saveexec_b64 s[2:3], s[0:1]
	s_cbranch_execz .LBB0_19
; %bb.18:
	ds_read_b128 v[12:15], v255
	ds_read_b128 v[16:19], v255 offset:2080
	ds_read_b128 v[24:27], v255 offset:4160
	;; [unrolled: 1-line block ×12, first 2 shown]
.LBB0_19:
	s_or_b64 exec, exec, s[2:3]
	s_and_saveexec_b64 s[2:3], s[0:1]
	s_cbranch_execz .LBB0_21
; %bb.20:
	s_waitcnt lgkmcnt(6)
	v_mul_f64 v[88:89], v[82:83], v[50:51]
	v_mul_f64 v[92:93], v[82:83], v[48:49]
	s_waitcnt lgkmcnt(5)
	v_mul_f64 v[94:95], v[78:79], v[84:85]
	v_mul_f64 v[90:91], v[78:79], v[86:87]
	;; [unrolled: 1-line block ×3, first 2 shown]
	s_waitcnt lgkmcnt(4)
	v_mul_f64 v[98:99], v[66:67], v[46:47]
	s_mov_b32 s18, 0x4bc48dbf
	s_mov_b32 s19, 0xbfcea1e5
	v_fma_f64 v[82:83], v[80:81], v[48:49], v[88:89]
	v_fma_f64 v[80:81], v[80:81], v[50:51], -v[92:93]
	v_fma_f64 v[50:51], v[76:77], v[86:87], -v[94:95]
	v_mul_f64 v[86:87], v[22:23], v[34:35]
	v_fma_f64 v[78:79], v[76:77], v[84:85], v[90:91]
	v_mul_f64 v[88:89], v[70:71], v[36:37]
	s_waitcnt lgkmcnt(3)
	v_mul_f64 v[90:91], v[74:75], v[42:43]
	v_mul_f64 v[92:93], v[66:67], v[44:45]
	v_fma_f64 v[84:85], v[68:69], v[36:37], v[96:97]
	v_fma_f64 v[48:49], v[64:65], v[44:45], v[98:99]
	v_mul_f64 v[74:75], v[74:75], v[40:41]
	v_fma_f64 v[66:67], v[20:21], v[32:33], v[86:87]
	v_mul_f64 v[86:87], v[10:11], v[30:31]
	v_fma_f64 v[38:39], v[68:69], v[38:39], -v[88:89]
	v_fma_f64 v[44:45], v[72:73], v[40:41], v[90:91]
	v_mul_f64 v[68:69], v[22:23], v[32:33]
	s_waitcnt lgkmcnt(0)
	v_mul_f64 v[88:89], v[62:63], v[138:139]
	v_fma_f64 v[32:33], v[64:65], v[46:47], -v[92:93]
	v_mul_f64 v[10:11], v[10:11], v[28:29]
	v_mul_f64 v[94:95], v[54:55], v[146:147]
	v_fma_f64 v[40:41], v[8:9], v[28:29], v[86:87]
	v_mul_f64 v[86:87], v[6:7], v[18:19]
	v_mul_f64 v[6:7], v[6:7], v[16:17]
	v_fma_f64 v[64:65], v[20:21], v[34:35], -v[68:69]
	v_fma_f64 v[34:35], v[72:73], v[42:43], -v[74:75]
	v_mul_f64 v[42:43], v[2:3], v[26:27]
	v_mul_f64 v[74:75], v[58:59], v[142:143]
	v_fma_f64 v[20:21], v[60:61], v[136:137], v[88:89]
	v_mul_f64 v[2:3], v[2:3], v[24:25]
	v_fma_f64 v[72:73], v[4:5], v[16:17], v[86:87]
	v_mul_f64 v[16:17], v[62:63], v[136:137]
	s_mov_b32 s16, 0x93053d00
	s_mov_b32 s21, 0x3fddbe06
	v_fma_f64 v[62:63], v[0:1], v[24:25], v[42:43]
	v_fma_f64 v[28:29], v[56:57], v[140:141], v[74:75]
	v_mul_f64 v[24:25], v[58:59], v[140:141]
	v_fma_f64 v[74:75], v[4:5], v[18:19], -v[6:7]
	v_add_f64 v[110:111], v[72:73], -v[20:21]
	v_fma_f64 v[16:17], v[60:61], v[138:139], -v[16:17]
	v_mul_f64 v[4:5], v[54:55], v[144:145]
	v_fma_f64 v[60:61], v[0:1], v[26:27], -v[2:3]
	s_mov_b32 s20, 0x4267c47c
	v_add_f64 v[108:109], v[62:63], -v[28:29]
	v_fma_f64 v[18:19], v[56:57], v[142:143], -v[24:25]
	s_mov_b32 s17, 0xbfef11f4
	v_mul_f64 v[0:1], v[110:111], s[18:19]
	v_add_f64 v[54:55], v[74:75], v[16:17]
	v_fma_f64 v[22:23], v[52:53], v[144:145], v[94:95]
	v_fma_f64 v[58:59], v[8:9], v[30:31], -v[10:11]
	v_fma_f64 v[24:25], v[52:53], v[146:147], -v[4:5]
	v_mul_f64 v[2:3], v[108:109], s[20:21]
	v_add_f64 v[30:31], v[60:61], v[18:19]
	s_mov_b32 s22, 0xe00740e9
	s_mov_b32 s23, 0x3fec55a7
	v_fma_f64 v[4:5], v[54:55], s[16:17], v[0:1]
	v_add_f64 v[68:69], v[40:41], -v[22:23]
	v_add_f64 v[92:93], v[74:75], -v[16:17]
	s_mov_b32 s26, 0x24c2f84
	s_mov_b32 s27, 0xbfe5384d
	v_fma_f64 v[8:9], v[30:31], s[22:23], v[2:3]
	v_add_f64 v[46:47], v[66:67], -v[44:45]
	v_add_f64 v[42:43], v[58:59], v[24:25]
	v_add_f64 v[4:5], v[14:15], v[4:5]
	v_mul_f64 v[6:7], v[68:69], s[26:27]
	v_add_f64 v[90:91], v[60:61], -v[18:19]
	v_add_f64 v[88:89], v[72:73], v[20:21]
	s_mov_b32 s40, 0x42a4c3d2
	s_mov_b32 s24, 0xd0032e0c
	;; [unrolled: 1-line block ×4, first 2 shown]
	v_add_f64 v[4:5], v[8:9], v[4:5]
	v_mul_f64 v[8:9], v[92:93], s[18:19]
	v_mul_f64 v[10:11], v[46:47], s[40:41]
	v_add_f64 v[26:27], v[64:65], v[34:35]
	v_fma_f64 v[56:57], v[42:43], s[24:25], v[6:7]
	v_add_f64 v[94:95], v[58:59], -v[24:25]
	v_add_f64 v[86:87], v[62:63], v[28:29]
	v_mul_f64 v[98:99], v[90:91], s[20:21]
	s_mov_b32 s34, 0x1ea71119
	v_fma_f64 v[102:103], v[88:89], s[16:17], -v[8:9]
	s_mov_b32 s35, 0x3fe22d96
	v_add_f64 v[70:71], v[84:85], -v[48:49]
	v_fma_f64 v[96:97], v[26:27], s[34:35], v[10:11]
	v_add_f64 v[4:5], v[56:57], v[4:5]
	v_add_f64 v[100:101], v[64:65], -v[34:35]
	v_add_f64 v[56:57], v[40:41], v[22:23]
	v_mul_f64 v[118:119], v[94:95], s[26:27]
	v_fma_f64 v[120:121], v[86:87], s[22:23], -v[98:99]
	v_add_f64 v[102:103], v[12:13], v[102:103]
	v_fma_f64 v[0:1], v[54:55], s[16:17], -v[0:1]
	s_mov_b32 s10, 0x2ef20147
	s_mov_b32 s11, 0xbfedeba7
	v_add_f64 v[76:77], v[82:83], -v[78:79]
	v_mul_f64 v[114:115], v[70:71], s[10:11]
	v_add_f64 v[52:53], v[38:39], v[32:33]
	v_add_f64 v[4:5], v[96:97], v[4:5]
	v_add_f64 v[106:107], v[38:39], -v[32:33]
	v_add_f64 v[96:97], v[66:67], v[44:45]
	v_mul_f64 v[122:123], v[100:101], s[40:41]
	v_fma_f64 v[124:125], v[56:57], s[24:25], -v[118:119]
	v_fma_f64 v[8:9], v[88:89], s[16:17], v[8:9]
	v_add_f64 v[120:121], v[120:121], v[102:103]
	v_fma_f64 v[2:3], v[30:31], s[22:23], -v[2:3]
	v_add_f64 v[0:1], v[14:15], v[0:1]
	s_mov_b32 s30, 0x66966769
	s_mov_b32 s28, 0xb2365da1
	;; [unrolled: 1-line block ×4, first 2 shown]
	v_add_f64 v[36:37], v[80:81], v[50:51]
	v_mul_f64 v[112:113], v[76:77], s[30:31]
	v_fma_f64 v[116:117], v[52:53], s[28:29], v[114:115]
	v_add_f64 v[104:105], v[80:81], -v[50:51]
	v_add_f64 v[102:103], v[84:85], v[48:49]
	v_mul_f64 v[126:127], v[106:107], s[10:11]
	v_fma_f64 v[128:129], v[96:97], s[34:35], -v[122:123]
	v_fma_f64 v[130:131], v[86:87], s[22:23], v[98:99]
	v_add_f64 v[8:9], v[12:13], v[8:9]
	v_add_f64 v[120:121], v[124:125], v[120:121]
	v_fma_f64 v[6:7], v[42:43], s[24:25], -v[6:7]
	v_add_f64 v[0:1], v[2:3], v[0:1]
	s_mov_b32 s8, 0xebaa3ed8
	s_mov_b32 s9, 0x3fbedb7d
	v_add_f64 v[98:99], v[82:83], v[78:79]
	v_mul_f64 v[124:125], v[104:105], s[30:31]
	v_fma_f64 v[2:3], v[102:103], s[28:29], -v[126:127]
	v_fma_f64 v[118:119], v[56:57], s[24:25], v[118:119]
	v_add_f64 v[8:9], v[130:131], v[8:9]
	v_add_f64 v[120:121], v[128:129], v[120:121]
	v_fma_f64 v[10:11], v[26:27], s[34:35], -v[10:11]
	v_add_f64 v[0:1], v[6:7], v[0:1]
	v_fma_f64 v[6:7], v[36:37], s[8:9], v[112:113]
	v_add_f64 v[4:5], v[116:117], v[4:5]
	v_fma_f64 v[116:117], v[98:99], s[8:9], -v[124:125]
	v_fma_f64 v[122:123], v[96:97], s[34:35], v[122:123]
	v_add_f64 v[8:9], v[118:119], v[8:9]
	v_add_f64 v[118:119], v[2:3], v[120:121]
	v_fma_f64 v[114:115], v[52:53], s[28:29], -v[114:115]
	v_add_f64 v[10:11], v[10:11], v[0:1]
	s_mov_b32 s37, 0xbfea55e2
	v_add_f64 v[2:3], v[6:7], v[4:5]
	v_mul_f64 v[6:7], v[110:111], s[26:27]
	v_fma_f64 v[4:5], v[102:103], s[28:29], v[126:127]
	v_add_f64 v[8:9], v[122:123], v[8:9]
	v_add_f64 v[0:1], v[116:117], v[118:119]
	v_mul_f64 v[118:119], v[108:109], s[30:31]
	v_add_f64 v[10:11], v[114:115], v[10:11]
	v_mul_f64 v[114:115], v[92:93], s[26:27]
	s_mov_b32 s36, s40
	v_fma_f64 v[120:121], v[54:55], s[24:25], v[6:7]
	v_fma_f64 v[116:117], v[98:99], s[8:9], v[124:125]
	v_add_f64 v[4:5], v[4:5], v[8:9]
	v_mul_f64 v[8:9], v[90:91], s[30:31]
	v_mul_f64 v[124:125], v[68:69], s[36:37]
	v_fma_f64 v[126:127], v[30:31], s[8:9], v[118:119]
	v_fma_f64 v[122:123], v[88:89], s[24:25], -v[114:115]
	s_mov_b32 s45, 0x3fcea1e5
	v_add_f64 v[120:121], v[14:15], v[120:121]
	s_mov_b32 s44, s18
	v_mul_f64 v[128:129], v[94:95], s[36:37]
	v_fma_f64 v[130:131], v[86:87], s[8:9], -v[8:9]
	v_mul_f64 v[132:133], v[46:47], s[44:45]
	v_fma_f64 v[134:135], v[42:43], s[34:35], v[124:125]
	v_add_f64 v[122:123], v[12:13], v[122:123]
	v_mul_f64 v[138:139], v[100:101], s[44:45]
	v_add_f64 v[120:121], v[126:127], v[120:121]
	v_mul_f64 v[126:127], v[70:71], s[20:21]
	v_fma_f64 v[140:141], v[56:57], s[34:35], -v[128:129]
	v_fma_f64 v[6:7], v[54:55], s[24:25], -v[6:7]
	v_fma_f64 v[114:115], v[88:89], s[24:25], v[114:115]
	v_mul_f64 v[136:137], v[76:77], s[10:11]
	v_add_f64 v[122:123], v[130:131], v[122:123]
	v_fma_f64 v[130:131], v[26:27], s[16:17], v[132:133]
	v_add_f64 v[120:121], v[134:135], v[120:121]
	v_fma_f64 v[134:135], v[52:53], s[22:23], v[126:127]
	v_mul_f64 v[142:143], v[106:107], s[20:21]
	v_fma_f64 v[144:145], v[96:97], s[16:17], -v[138:139]
	v_fma_f64 v[118:119], v[30:31], s[8:9], -v[118:119]
	v_add_f64 v[6:7], v[14:15], v[6:7]
	v_add_f64 v[122:123], v[140:141], v[122:123]
	v_fma_f64 v[8:9], v[86:87], s[8:9], v[8:9]
	v_add_f64 v[120:121], v[130:131], v[120:121]
	v_add_f64 v[114:115], v[12:13], v[114:115]
	v_fma_f64 v[112:113], v[36:37], s[8:9], -v[112:113]
	v_mul_f64 v[130:131], v[104:105], s[10:11]
	v_fma_f64 v[140:141], v[102:103], s[22:23], -v[142:143]
	v_fma_f64 v[124:125], v[42:43], s[34:35], -v[124:125]
	v_add_f64 v[122:123], v[144:145], v[122:123]
	v_add_f64 v[6:7], v[118:119], v[6:7]
	v_fma_f64 v[118:119], v[36:37], s[28:29], v[136:137]
	v_fma_f64 v[128:129], v[56:57], s[34:35], v[128:129]
	v_add_f64 v[8:9], v[8:9], v[114:115]
	v_add_f64 v[114:115], v[134:135], v[120:121]
	v_fma_f64 v[120:121], v[98:99], s[28:29], -v[130:131]
	v_fma_f64 v[132:133], v[26:27], s[16:17], -v[132:133]
	v_add_f64 v[122:123], v[140:141], v[122:123]
	v_add_f64 v[124:125], v[124:125], v[6:7]
	v_add_f64 v[10:11], v[112:113], v[10:11]
	v_fma_f64 v[112:113], v[96:97], s[16:17], v[138:139]
	v_add_f64 v[128:129], v[128:129], v[8:9]
	v_add_f64 v[6:7], v[118:119], v[114:115]
	v_fma_f64 v[114:115], v[52:53], s[22:23], -v[126:127]
	v_mul_f64 v[118:119], v[110:111], s[10:11]
	v_mul_f64 v[126:127], v[92:93], s[10:11]
	s_mov_b32 s43, 0x3fe5384d
	s_mov_b32 s42, s26
	v_add_f64 v[8:9], v[116:117], v[4:5]
	v_add_f64 v[4:5], v[120:121], v[122:123]
	v_add_f64 v[116:117], v[132:133], v[124:125]
	v_fma_f64 v[120:121], v[102:103], s[22:23], v[142:143]
	v_add_f64 v[112:113], v[112:113], v[128:129]
	v_mul_f64 v[122:123], v[108:109], s[42:43]
	v_fma_f64 v[128:129], v[54:55], s[28:29], v[118:119]
	v_mul_f64 v[132:133], v[90:91], s[42:43]
	v_fma_f64 v[134:135], v[88:89], s[28:29], -v[126:127]
	v_mul_f64 v[140:141], v[94:95], s[20:21]
	v_add_f64 v[114:115], v[114:115], v[116:117]
	v_fma_f64 v[116:117], v[98:99], s[28:29], v[130:131]
	v_add_f64 v[112:113], v[120:121], v[112:113]
	v_mul_f64 v[120:121], v[68:69], s[20:21]
	v_fma_f64 v[130:131], v[30:31], s[24:25], v[122:123]
	v_add_f64 v[128:129], v[14:15], v[128:129]
	v_fma_f64 v[142:143], v[86:87], s[24:25], -v[132:133]
	v_add_f64 v[134:135], v[12:13], v[134:135]
	s_mov_b32 s39, 0xbfefc445
	s_mov_b32 s38, s30
	v_fma_f64 v[124:125], v[36:37], s[28:29], -v[136:137]
	v_mul_f64 v[136:137], v[46:47], s[38:39]
	v_fma_f64 v[138:139], v[42:43], s[22:23], v[120:121]
	v_add_f64 v[128:129], v[130:131], v[128:129]
	v_fma_f64 v[118:119], v[54:55], s[28:29], -v[118:119]
	v_mul_f64 v[148:149], v[100:101], s[38:39]
	v_fma_f64 v[150:151], v[56:57], s[22:23], -v[140:141]
	v_add_f64 v[134:135], v[142:143], v[134:135]
	v_mul_f64 v[144:145], v[70:71], s[44:45]
	v_fma_f64 v[146:147], v[26:27], s[8:9], v[136:137]
	v_fma_f64 v[122:123], v[30:31], s[24:25], -v[122:123]
	v_add_f64 v[128:129], v[138:139], v[128:129]
	v_add_f64 v[118:119], v[14:15], v[118:119]
	v_mul_f64 v[142:143], v[106:107], s[44:45]
	v_fma_f64 v[152:153], v[96:97], s[8:9], -v[148:149]
	v_fma_f64 v[126:127], v[88:89], s[28:29], v[126:127]
	v_add_f64 v[134:135], v[150:151], v[134:135]
	v_mul_f64 v[130:131], v[76:77], s[40:41]
	v_fma_f64 v[138:139], v[52:53], s[16:17], v[144:145]
	v_add_f64 v[128:129], v[146:147], v[128:129]
	v_fma_f64 v[120:121], v[42:43], s[22:23], -v[120:121]
	v_add_f64 v[118:119], v[122:123], v[118:119]
	v_mul_f64 v[122:123], v[104:105], s[40:41]
	v_fma_f64 v[146:147], v[102:103], s[16:17], -v[142:143]
	v_fma_f64 v[132:133], v[86:87], s[24:25], v[132:133]
	v_add_f64 v[126:127], v[12:13], v[126:127]
	v_add_f64 v[134:135], v[152:153], v[134:135]
	v_fma_f64 v[150:151], v[36:37], s[34:35], v[130:131]
	v_fma_f64 v[136:137], v[26:27], s[8:9], -v[136:137]
	v_add_f64 v[118:119], v[120:121], v[118:119]
	v_add_f64 v[120:121], v[138:139], v[128:129]
	v_fma_f64 v[128:129], v[98:99], s[34:35], -v[122:123]
	v_fma_f64 v[138:139], v[56:57], s[22:23], v[140:141]
	v_add_f64 v[126:127], v[132:133], v[126:127]
	v_add_f64 v[132:133], v[146:147], v[134:135]
	;; [unrolled: 1-line block ×6, first 2 shown]
	v_fma_f64 v[120:121], v[96:97], s[8:9], v[148:149]
	v_fma_f64 v[124:125], v[52:53], s[16:17], -v[144:145]
	v_add_f64 v[126:127], v[138:139], v[126:127]
	v_add_f64 v[116:117], v[128:129], v[132:133]
	v_mul_f64 v[128:129], v[110:111], s[38:39]
	v_mul_f64 v[132:133], v[92:93], s[38:39]
	s_mov_b32 s41, 0x3fedeba7
	s_mov_b32 s40, s10
	v_mul_f64 v[138:139], v[90:91], s[18:19]
	v_add_f64 v[124:125], v[124:125], v[134:135]
	v_add_f64 v[120:121], v[120:121], v[126:127]
	v_mul_f64 v[126:127], v[108:109], s[18:19]
	v_fma_f64 v[136:137], v[54:55], s[8:9], v[128:129]
	v_fma_f64 v[134:135], v[98:99], s[34:35], v[122:123]
	;; [unrolled: 1-line block ×3, first 2 shown]
	v_fma_f64 v[140:141], v[88:89], s[8:9], -v[132:133]
	v_mul_f64 v[142:143], v[68:69], s[40:41]
	v_fma_f64 v[128:129], v[54:55], s[8:9], -v[128:129]
	v_mul_f64 v[146:147], v[94:95], s[40:41]
	v_fma_f64 v[144:145], v[30:31], s[16:17], v[126:127]
	v_add_f64 v[136:137], v[14:15], v[136:137]
	v_fma_f64 v[148:149], v[86:87], s[16:17], -v[138:139]
	v_mul_f64 v[150:151], v[46:47], s[20:21]
	v_add_f64 v[140:141], v[12:13], v[140:141]
	v_fma_f64 v[126:127], v[30:31], s[16:17], -v[126:127]
	v_add_f64 v[128:129], v[14:15], v[128:129]
	v_fma_f64 v[152:153], v[42:43], s[28:29], v[142:143]
	v_fma_f64 v[154:155], v[56:57], s[28:29], -v[146:147]
	v_add_f64 v[136:137], v[144:145], v[136:137]
	v_mul_f64 v[144:145], v[100:101], s[20:21]
	v_fma_f64 v[142:143], v[42:43], s[28:29], -v[142:143]
	v_add_f64 v[140:141], v[148:149], v[140:141]
	v_mul_f64 v[148:149], v[70:71], s[36:37]
	v_add_f64 v[126:127], v[126:127], v[128:129]
	v_fma_f64 v[128:129], v[26:27], s[22:23], v[150:151]
	v_fma_f64 v[150:151], v[26:27], s[22:23], -v[150:151]
	v_add_f64 v[136:137], v[152:153], v[136:137]
	v_mul_f64 v[152:153], v[106:107], s[36:37]
	v_fma_f64 v[156:157], v[96:97], s[22:23], -v[144:145]
	v_add_f64 v[140:141], v[154:155], v[140:141]
	v_mul_f64 v[154:155], v[76:77], s[26:27]
	v_add_f64 v[126:127], v[142:143], v[126:127]
	v_fma_f64 v[142:143], v[52:53], s[34:35], v[148:149]
	v_fma_f64 v[130:131], v[36:37], s[34:35], -v[130:131]
	v_add_f64 v[128:129], v[128:129], v[136:137]
	v_mul_f64 v[136:137], v[104:105], s[26:27]
	v_fma_f64 v[158:159], v[102:103], s[34:35], -v[152:153]
	v_add_f64 v[140:141], v[156:157], v[140:141]
	v_add_f64 v[120:121], v[122:123], v[120:121]
	v_fma_f64 v[148:149], v[52:53], s[34:35], -v[148:149]
	v_add_f64 v[126:127], v[150:151], v[126:127]
	v_fma_f64 v[150:151], v[36:37], s[24:25], v[154:155]
	v_add_f64 v[128:129], v[142:143], v[128:129]
	v_mul_f64 v[142:143], v[110:111], s[36:37]
	v_add_f64 v[122:123], v[130:131], v[124:125]
	v_fma_f64 v[124:125], v[98:99], s[24:25], -v[136:137]
	v_add_f64 v[130:131], v[158:159], v[140:141]
	v_fma_f64 v[140:141], v[36:37], s[24:25], -v[154:155]
	v_add_f64 v[148:149], v[148:149], v[126:127]
	v_add_f64 v[120:121], v[134:135], v[120:121]
	;; [unrolled: 1-line block ×3, first 2 shown]
	v_mul_f64 v[128:129], v[92:93], s[36:37]
	v_fma_f64 v[132:133], v[88:89], s[8:9], v[132:133]
	v_mul_f64 v[134:135], v[108:109], s[10:11]
	v_fma_f64 v[150:151], v[54:55], s[34:35], v[142:143]
	v_add_f64 v[74:75], v[14:15], v[74:75]
	v_add_f64 v[72:73], v[12:13], v[72:73]
	;; [unrolled: 1-line block ×4, first 2 shown]
	v_fma_f64 v[138:139], v[86:87], s[16:17], v[138:139]
	v_mul_f64 v[140:141], v[90:91], s[10:11]
	v_fma_f64 v[148:149], v[88:89], s[34:35], -v[128:129]
	v_add_f64 v[132:133], v[12:13], v[132:133]
	v_mul_f64 v[154:155], v[68:69], s[18:19]
	v_fma_f64 v[156:157], v[30:31], s[28:29], v[134:135]
	v_add_f64 v[150:151], v[14:15], v[150:151]
	v_add_f64 v[60:61], v[74:75], v[60:61]
	v_add_f64 v[62:63], v[72:73], v[62:63]
	v_fma_f64 v[146:147], v[56:57], s[28:29], v[146:147]
	v_fma_f64 v[160:161], v[86:87], s[28:29], -v[140:141]
	v_add_f64 v[148:149], v[12:13], v[148:149]
	v_add_f64 v[132:133], v[138:139], v[132:133]
	v_mul_f64 v[138:139], v[46:47], s[42:43]
	v_fma_f64 v[162:163], v[42:43], s[16:17], v[154:155]
	v_add_f64 v[150:151], v[156:157], v[150:151]
	v_add_f64 v[58:59], v[60:61], v[58:59]
	;; [unrolled: 1-line block ×3, first 2 shown]
	v_fma_f64 v[144:145], v[96:97], s[22:23], v[144:145]
	v_add_f64 v[148:149], v[160:161], v[148:149]
	v_add_f64 v[132:133], v[146:147], v[132:133]
	v_fma_f64 v[160:161], v[26:27], s[24:25], v[138:139]
	v_fma_f64 v[142:143], v[54:55], s[34:35], -v[142:143]
	v_add_f64 v[150:151], v[162:163], v[150:151]
	v_add_f64 v[58:59], v[58:59], v[64:65]
	;; [unrolled: 1-line block ×3, first 2 shown]
	v_fma_f64 v[134:135], v[30:31], s[28:29], -v[134:135]
	v_fma_f64 v[128:129], v[88:89], s[34:35], v[128:129]
	v_add_f64 v[132:133], v[144:145], v[132:133]
	v_mul_f64 v[144:145], v[76:77], s[20:21]
	v_add_f64 v[142:143], v[14:15], v[142:143]
	v_add_f64 v[150:151], v[160:161], v[150:151]
	v_mul_f64 v[160:161], v[104:105], s[20:21]
	s_mov_b32 s21, 0xbfddbe06
	v_add_f64 v[38:39], v[58:59], v[38:39]
	v_add_f64 v[58:59], v[64:65], v[84:85]
	v_mul_f64 v[110:111], v[110:111], s[20:21]
	v_mul_f64 v[64:65], v[92:93], s[20:21]
	;; [unrolled: 1-line block ×3, first 2 shown]
	v_fma_f64 v[154:155], v[42:43], s[16:17], -v[154:155]
	v_add_f64 v[134:135], v[134:135], v[142:143]
	v_fma_f64 v[140:141], v[86:87], s[28:29], v[140:141]
	v_add_f64 v[38:39], v[38:39], v[80:81]
	v_add_f64 v[58:59], v[58:59], v[82:83]
	;; [unrolled: 1-line block ×3, first 2 shown]
	v_mul_f64 v[108:109], v[108:109], s[36:37]
	v_fma_f64 v[142:143], v[54:55], s[22:23], v[110:111]
	v_fma_f64 v[54:55], v[54:55], s[22:23], -v[110:111]
	v_mul_f64 v[90:91], v[90:91], s[36:37]
	v_fma_f64 v[80:81], v[88:89], s[22:23], v[64:65]
	v_fma_f64 v[64:65], v[88:89], s[22:23], -v[64:65]
	v_add_f64 v[38:39], v[38:39], v[50:51]
	v_add_f64 v[50:51], v[58:59], v[78:79]
	v_mul_f64 v[156:157], v[100:101], s[42:43]
	v_fma_f64 v[164:165], v[56:57], s[16:17], -v[158:159]
	v_mul_f64 v[146:147], v[70:71], s[30:31]
	v_fma_f64 v[138:139], v[26:27], s[24:25], -v[138:139]
	v_add_f64 v[134:135], v[154:155], v[134:135]
	v_fma_f64 v[154:155], v[56:57], s[16:17], v[158:159]
	v_add_f64 v[128:129], v[140:141], v[128:129]
	v_mul_f64 v[68:69], v[68:69], s[38:39]
	v_fma_f64 v[140:141], v[30:31], s[34:35], v[108:109]
	v_add_f64 v[142:143], v[14:15], v[142:143]
	v_mul_f64 v[82:83], v[94:95], s[38:39]
	v_fma_f64 v[30:31], v[30:31], s[34:35], -v[108:109]
	v_add_f64 v[14:15], v[14:15], v[54:55]
	v_fma_f64 v[54:55], v[86:87], s[34:35], v[90:91]
	v_add_f64 v[58:59], v[12:13], v[80:81]
	v_fma_f64 v[78:79], v[86:87], s[34:35], -v[90:91]
	v_add_f64 v[12:13], v[12:13], v[64:65]
	v_add_f64 v[32:33], v[38:39], v[32:33]
	;; [unrolled: 1-line block ×4, first 2 shown]
	v_fma_f64 v[164:165], v[52:53], s[8:9], v[146:147]
	v_fma_f64 v[146:147], v[52:53], s[8:9], -v[146:147]
	v_add_f64 v[72:73], v[138:139], v[134:135]
	v_fma_f64 v[74:75], v[96:97], s[24:25], v[156:157]
	v_add_f64 v[128:129], v[154:155], v[128:129]
	v_mul_f64 v[46:47], v[46:47], s[10:11]
	v_fma_f64 v[134:135], v[42:43], s[8:9], v[68:69]
	v_mul_f64 v[92:93], v[100:101], s[10:11]
	v_fma_f64 v[42:43], v[42:43], s[8:9], -v[68:69]
	v_add_f64 v[14:15], v[30:31], v[14:15]
	v_fma_f64 v[30:31], v[56:57], s[8:9], v[82:83]
	v_add_f64 v[48:49], v[54:55], v[58:59]
	v_mul_f64 v[162:163], v[106:107], s[30:31]
	v_add_f64 v[138:139], v[140:141], v[142:143]
	v_fma_f64 v[50:51], v[56:57], s[8:9], -v[82:83]
	v_add_f64 v[12:13], v[78:79], v[12:13]
	v_add_f64 v[32:33], v[32:33], v[34:35]
	v_add_f64 v[34:35], v[38:39], v[44:45]
	v_add_f64 v[60:61], v[146:147], v[72:73]
	v_add_f64 v[72:73], v[74:75], v[128:129]
	v_mul_f64 v[70:71], v[70:71], s[26:27]
	v_fma_f64 v[74:75], v[26:27], s[28:29], v[46:47]
	v_mul_f64 v[84:85], v[106:107], s[26:27]
	v_fma_f64 v[26:27], v[26:27], s[28:29], -v[46:47]
	v_add_f64 v[14:15], v[42:43], v[14:15]
	v_fma_f64 v[42:43], v[96:97], s[28:29], v[92:93]
	v_add_f64 v[30:31], v[30:31], v[48:49]
	v_fma_f64 v[152:153], v[102:103], s[34:35], v[152:153]
	v_fma_f64 v[166:167], v[96:97], s[24:25], -v[156:157]
	v_fma_f64 v[62:63], v[102:103], s[8:9], v[162:163]
	v_add_f64 v[128:129], v[134:135], v[138:139]
	v_fma_f64 v[38:39], v[96:97], s[28:29], -v[92:93]
	v_add_f64 v[12:13], v[50:51], v[12:13]
	v_add_f64 v[24:25], v[32:33], v[24:25]
	;; [unrolled: 1-line block ×3, first 2 shown]
	v_mul_f64 v[66:67], v[76:77], s[18:19]
	v_mul_f64 v[76:77], v[104:105], s[18:19]
	v_fma_f64 v[44:45], v[52:53], s[24:25], -v[70:71]
	v_add_f64 v[14:15], v[26:27], v[14:15]
	v_fma_f64 v[26:27], v[102:103], s[24:25], v[84:85]
	v_add_f64 v[30:31], v[42:43], v[30:31]
	v_add_f64 v[132:133], v[152:153], v[132:133]
	v_fma_f64 v[152:153], v[36:37], s[22:23], v[144:145]
	v_fma_f64 v[144:145], v[36:37], s[22:23], -v[144:145]
	v_fma_f64 v[168:169], v[102:103], s[8:9], -v[162:163]
	v_add_f64 v[148:149], v[166:167], v[148:149]
	v_add_f64 v[62:63], v[62:63], v[72:73]
	v_fma_f64 v[72:73], v[52:53], s[24:25], v[70:71]
	v_add_f64 v[74:75], v[74:75], v[128:129]
	v_fma_f64 v[32:33], v[102:103], s[24:25], -v[84:85]
	v_add_f64 v[12:13], v[38:39], v[12:13]
	v_add_f64 v[18:19], v[24:25], v[18:19]
	;; [unrolled: 1-line block ×3, first 2 shown]
	v_fma_f64 v[34:35], v[36:37], s[16:17], -v[66:67]
	v_add_f64 v[14:15], v[44:45], v[14:15]
	v_fma_f64 v[38:39], v[98:99], s[16:17], v[76:77]
	v_add_f64 v[24:25], v[26:27], v[30:31]
	v_add_f64 v[40:41], v[144:145], v[60:61]
	v_fma_f64 v[60:61], v[98:99], s[22:23], v[160:161]
	v_fma_f64 v[136:137], v[98:99], s[24:25], v[136:137]
	v_add_f64 v[150:151], v[164:165], v[150:151]
	v_fma_f64 v[164:165], v[98:99], s[22:23], -v[160:161]
	v_add_f64 v[148:149], v[168:169], v[148:149]
	v_fma_f64 v[26:27], v[36:37], s[16:17], v[66:67]
	v_add_f64 v[28:29], v[72:73], v[74:75]
	v_fma_f64 v[30:31], v[98:99], s[16:17], -v[76:77]
	v_add_f64 v[32:33], v[32:33], v[12:13]
	v_add_f64 v[18:19], v[18:19], v[16:17]
	;; [unrolled: 1-line block ×11, first 2 shown]
	ds_write_b128 v255, v[16:19]
	ds_write_b128 v255, v[12:15] offset:2080
	ds_write_b128 v255, v[38:41] offset:4160
	;; [unrolled: 1-line block ×12, first 2 shown]
.LBB0_21:
	s_or_b64 exec, exec, s[2:3]
	s_waitcnt lgkmcnt(0)
	s_barrier
	s_and_b64 exec, exec, s[0:1]
	s_cbranch_execz .LBB0_23
; %bb.22:
	v_mov_b32_e32 v1, s15
	v_add_co_u32_e32 v0, vcc, s14, v255
	v_addc_co_u32_e32 v1, vcc, 0, v1, vcc
	s_movk_i32 s0, 0x1000
	v_add_co_u32_e32 v18, vcc, s0, v0
	v_addc_co_u32_e32 v19, vcc, 0, v1, vcc
	s_movk_i32 s0, 0x2000
	v_add_co_u32_e32 v50, vcc, s0, v0
	v_addc_co_u32_e32 v51, vcc, 0, v1, vcc
	global_load_dwordx4 v[2:5], v255, s[14:15]
	global_load_dwordx4 v[6:9], v255, s[14:15] offset:2080
	global_load_dwordx4 v[10:13], v[18:19], off offset:64
	global_load_dwordx4 v[14:17], v[18:19], off offset:2144
	v_mad_u64_u32 v[72:73], s[2:3], s4, v197, 0
	global_load_dwordx4 v[18:21], v[50:51], off offset:128
	buffer_load_dword v22, off, s[52:55], 0 ; 4-byte Folded Reload
	buffer_load_dword v23, off, s[52:55], 0 offset:4 ; 4-byte Folded Reload
	s_mul_i32 s2, s4, 0x820
	s_mul_i32 s3, s5, 0x820
	s_movk_i32 s8, 0x4000
	v_mov_b32_e32 v79, s13
	s_movk_i32 s9, 0x5000
	s_waitcnt vmcnt(1)
	v_mov_b32_e32 v64, v22
	s_waitcnt vmcnt(0)
	ds_read_b128 v[22:25], v255
	ds_read_b128 v[26:29], v255 offset:2080
	ds_read_b128 v[30:33], v255 offset:4160
	;; [unrolled: 1-line block ×5, first 2 shown]
	global_load_dwordx4 v[50:53], v[50:51], off offset:2208
	v_mad_u64_u32 v[70:71], s[0:1], s6, v64, 0
	s_mul_hi_u32 s6, s4, 0x820
	s_movk_i32 s4, 0x3000
	v_add_co_u32_e32 v62, vcc, s4, v0
	v_addc_co_u32_e32 v63, vcc, 0, v1, vcc
	ds_read_b128 v[46:49], v255 offset:24960
	global_load_dwordx4 v[54:57], v[62:63], off offset:192
	global_load_dwordx4 v[58:61], v[62:63], off offset:2272
	v_mov_b32_e32 v62, v71
	v_mov_b32_e32 v63, v73
	s_add_i32 s3, s6, s3
	v_mad_u64_u32 v[76:77], s[6:7], s7, v64, v[62:63]
	v_mad_u64_u32 v[77:78], s[4:5], s5, v197, v[63:64]
	v_mov_b32_e32 v71, v76
	v_add_co_u32_e32 v74, vcc, s8, v0
	v_lshlrev_b64 v[70:71], 4, v[70:71]
	v_addc_co_u32_e32 v75, vcc, 0, v1, vcc
	v_mov_b32_e32 v73, v77
	v_lshlrev_b64 v[72:73], 4, v[72:73]
	v_add_co_u32_e32 v70, vcc, s12, v70
	v_addc_co_u32_e32 v71, vcc, v79, v71, vcc
	v_add_co_u32_e32 v70, vcc, v70, v72
	v_addc_co_u32_e32 v71, vcc, v71, v73, vcc
	s_waitcnt lgkmcnt(6)
	v_mul_f64 v[72:73], v[24:25], v[4:5]
	v_mul_f64 v[4:5], v[22:23], v[4:5]
	global_load_dwordx4 v[62:65], v[74:75], off offset:256
	global_load_dwordx4 v[66:69], v[74:75], off offset:2336
	s_waitcnt lgkmcnt(5)
	v_mul_f64 v[74:75], v[28:29], v[8:9]
	v_mul_f64 v[8:9], v[26:27], v[8:9]
	s_mov_b32 s0, 0x622898b1
	s_mov_b32 s1, 0x3f4363ac
	v_mov_b32_e32 v80, s3
	v_fma_f64 v[22:23], v[22:23], v[2:3], v[72:73]
	v_fma_f64 v[4:5], v[2:3], v[24:25], -v[4:5]
	v_add_co_u32_e32 v76, vcc, s2, v70
	v_fma_f64 v[24:25], v[26:27], v[6:7], v[74:75]
	v_fma_f64 v[8:9], v[6:7], v[28:29], -v[8:9]
	s_waitcnt lgkmcnt(3)
	v_mul_f64 v[26:27], v[36:37], v[16:17]
	v_mul_f64 v[16:17], v[34:35], v[16:17]
	;; [unrolled: 1-line block ×4, first 2 shown]
	v_addc_co_u32_e32 v77, vcc, v71, v80, vcc
	v_mul_f64 v[6:7], v[24:25], s[0:1]
	v_mul_f64 v[8:9], v[8:9], s[0:1]
	v_fma_f64 v[24:25], v[34:35], v[14:15], v[26:27]
	v_fma_f64 v[14:15], v[14:15], v[36:37], -v[16:17]
	v_add_co_u32_e32 v16, vcc, s9, v0
	global_store_dwordx4 v[70:71], v[2:5], off
	global_store_dwordx4 v[76:77], v[6:9], off
	v_addc_co_u32_e32 v17, vcc, 0, v1, vcc
	global_load_dwordx4 v[2:5], v[16:17], off offset:320
	global_load_dwordx4 v[6:9], v[16:17], off offset:2400
	v_mul_f64 v[78:79], v[32:33], v[12:13]
	v_mul_f64 v[12:13], v[30:31], v[12:13]
	s_waitcnt lgkmcnt(2)
	v_mul_f64 v[22:23], v[40:41], v[20:21]
	v_mul_f64 v[20:21], v[38:39], v[20:21]
	v_mov_b32_e32 v81, s3
	v_add_co_u32_e32 v16, vcc, s2, v76
	v_addc_co_u32_e32 v17, vcc, v77, v81, vcc
	v_fma_f64 v[28:29], v[30:31], v[10:11], v[78:79]
	v_fma_f64 v[12:13], v[10:11], v[32:33], -v[12:13]
	v_mov_b32_e32 v32, s3
	s_movk_i32 s4, 0x6000
	v_mul_f64 v[10:11], v[28:29], s[0:1]
	v_mul_f64 v[12:13], v[12:13], s[0:1]
	global_store_dwordx4 v[16:17], v[10:13], off
	s_nop 0
	v_mul_f64 v[10:11], v[24:25], s[0:1]
	v_mul_f64 v[12:13], v[14:15], s[0:1]
	v_fma_f64 v[14:15], v[38:39], v[18:19], v[22:23]
	v_fma_f64 v[18:19], v[18:19], v[40:41], -v[20:21]
	s_waitcnt vmcnt(9) lgkmcnt(1)
	v_mul_f64 v[20:21], v[44:45], v[52:53]
	v_mul_f64 v[22:23], v[42:43], v[52:53]
	v_mov_b32_e32 v25, s3
	v_add_co_u32_e32 v24, vcc, s2, v16
	v_addc_co_u32_e32 v25, vcc, v17, v25, vcc
	global_store_dwordx4 v[24:25], v[10:13], off
	v_fma_f64 v[26:27], v[42:43], v[50:51], v[20:21]
	v_mul_f64 v[10:11], v[14:15], s[0:1]
	ds_read_b128 v[14:17], v255 offset:12480
	v_mul_f64 v[12:13], v[18:19], s[0:1]
	ds_read_b128 v[18:21], v255 offset:14560
	v_fma_f64 v[22:23], v[50:51], v[44:45], -v[22:23]
	v_add_co_u32_e32 v24, vcc, s2, v24
	s_waitcnt vmcnt(9) lgkmcnt(1)
	v_mul_f64 v[28:29], v[16:17], v[56:57]
	v_mul_f64 v[30:31], v[14:15], v[56:57]
	v_addc_co_u32_e32 v25, vcc, v25, v32, vcc
	global_store_dwordx4 v[24:25], v[10:13], off
	v_add_co_u32_e32 v24, vcc, s2, v24
	v_mul_f64 v[10:11], v[26:27], s[0:1]
	v_mul_f64 v[12:13], v[22:23], s[0:1]
	v_fma_f64 v[14:15], v[14:15], v[54:55], v[28:29]
	v_fma_f64 v[16:17], v[54:55], v[16:17], -v[30:31]
	s_waitcnt vmcnt(9) lgkmcnt(0)
	v_mul_f64 v[22:23], v[20:21], v[60:61]
	v_mul_f64 v[26:27], v[18:19], v[60:61]
	v_addc_co_u32_e32 v25, vcc, v25, v32, vcc
	global_store_dwordx4 v[24:25], v[10:13], off
	s_nop 0
	v_mul_f64 v[10:11], v[14:15], s[0:1]
	v_mul_f64 v[12:13], v[16:17], s[0:1]
	ds_read_b128 v[14:17], v255 offset:16640
	v_fma_f64 v[22:23], v[18:19], v[58:59], v[22:23]
	v_fma_f64 v[26:27], v[58:59], v[20:21], -v[26:27]
	ds_read_b128 v[18:21], v255 offset:18720
	v_add_co_u32_e32 v24, vcc, s2, v24
	s_waitcnt vmcnt(9) lgkmcnt(1)
	v_mul_f64 v[28:29], v[16:17], v[64:65]
	v_mul_f64 v[30:31], v[14:15], v[64:65]
	v_addc_co_u32_e32 v25, vcc, v25, v32, vcc
	global_store_dwordx4 v[24:25], v[10:13], off
	v_add_co_u32_e32 v24, vcc, s2, v24
	v_mul_f64 v[10:11], v[22:23], s[0:1]
	v_mul_f64 v[12:13], v[26:27], s[0:1]
	v_fma_f64 v[14:15], v[14:15], v[62:63], v[28:29]
	v_fma_f64 v[16:17], v[62:63], v[16:17], -v[30:31]
	s_waitcnt vmcnt(9) lgkmcnt(0)
	v_mul_f64 v[22:23], v[20:21], v[68:69]
	v_mul_f64 v[26:27], v[18:19], v[68:69]
	v_addc_co_u32_e32 v25, vcc, v25, v32, vcc
	v_mov_b32_e32 v28, s3
	global_store_dwordx4 v[24:25], v[10:13], off
	v_add_co_u32_e32 v24, vcc, s2, v24
	v_mul_f64 v[10:11], v[14:15], s[0:1]
	v_mul_f64 v[12:13], v[16:17], s[0:1]
	v_fma_f64 v[22:23], v[18:19], v[66:67], v[22:23]
	v_fma_f64 v[26:27], v[66:67], v[20:21], -v[26:27]
	ds_read_b128 v[14:17], v255 offset:20800
	ds_read_b128 v[18:21], v255 offset:22880
	v_addc_co_u32_e32 v25, vcc, v25, v28, vcc
	s_waitcnt vmcnt(7) lgkmcnt(1)
	v_mul_f64 v[28:29], v[16:17], v[4:5]
	v_mul_f64 v[4:5], v[14:15], v[4:5]
	s_waitcnt vmcnt(6) lgkmcnt(0)
	v_mul_f64 v[30:31], v[20:21], v[8:9]
	v_mul_f64 v[32:33], v[18:19], v[8:9]
	global_store_dwordx4 v[24:25], v[10:13], off
	v_mul_f64 v[8:9], v[22:23], s[0:1]
	v_mul_f64 v[10:11], v[26:27], s[0:1]
	v_mov_b32_e32 v22, s3
	v_fma_f64 v[12:13], v[14:15], v[2:3], v[28:29]
	v_fma_f64 v[4:5], v[2:3], v[16:17], -v[4:5]
	v_fma_f64 v[14:15], v[18:19], v[6:7], v[30:31]
	v_fma_f64 v[16:17], v[6:7], v[20:21], -v[32:33]
	v_add_co_u32_e32 v18, vcc, s2, v24
	v_addc_co_u32_e32 v19, vcc, v25, v22, vcc
	v_mul_f64 v[2:3], v[12:13], s[0:1]
	v_mul_f64 v[4:5], v[4:5], s[0:1]
	global_store_dwordx4 v[18:19], v[8:11], off
	v_mul_f64 v[6:7], v[14:15], s[0:1]
	v_mul_f64 v[8:9], v[16:17], s[0:1]
	v_mov_b32_e32 v11, s3
	v_add_co_u32_e32 v10, vcc, s2, v18
	v_addc_co_u32_e32 v11, vcc, v19, v11, vcc
	global_store_dwordx4 v[10:11], v[2:5], off
	s_nop 0
	v_mov_b32_e32 v2, s3
	v_add_co_u32_e32 v4, vcc, s2, v10
	v_addc_co_u32_e32 v5, vcc, v11, v2, vcc
	v_add_co_u32_e32 v0, vcc, s4, v0
	global_store_dwordx4 v[4:5], v[6:9], off
	v_addc_co_u32_e32 v1, vcc, 0, v1, vcc
	global_load_dwordx4 v[0:3], v[0:1], off offset:384
	v_add_co_u32_e32 v4, vcc, s2, v4
	s_waitcnt vmcnt(0)
	v_mul_f64 v[6:7], v[48:49], v[2:3]
	v_mul_f64 v[2:3], v[46:47], v[2:3]
	v_fma_f64 v[6:7], v[46:47], v[0:1], v[6:7]
	v_fma_f64 v[2:3], v[0:1], v[48:49], -v[2:3]
	v_mul_f64 v[0:1], v[6:7], s[0:1]
	v_mul_f64 v[2:3], v[2:3], s[0:1]
	v_mov_b32_e32 v6, s3
	v_addc_co_u32_e32 v5, vcc, v5, v6, vcc
	global_store_dwordx4 v[4:5], v[0:3], off
.LBB0_23:
	s_endpgm
	.section	.rodata,"a",@progbits
	.p2align	6, 0x0
	.amdhsa_kernel bluestein_single_back_len1690_dim1_dp_op_CI_CI
		.amdhsa_group_segment_fixed_size 27040
		.amdhsa_private_segment_fixed_size 324
		.amdhsa_kernarg_size 104
		.amdhsa_user_sgpr_count 6
		.amdhsa_user_sgpr_private_segment_buffer 1
		.amdhsa_user_sgpr_dispatch_ptr 0
		.amdhsa_user_sgpr_queue_ptr 0
		.amdhsa_user_sgpr_kernarg_segment_ptr 1
		.amdhsa_user_sgpr_dispatch_id 0
		.amdhsa_user_sgpr_flat_scratch_init 0
		.amdhsa_user_sgpr_private_segment_size 0
		.amdhsa_uses_dynamic_stack 0
		.amdhsa_system_sgpr_private_segment_wavefront_offset 1
		.amdhsa_system_sgpr_workgroup_id_x 1
		.amdhsa_system_sgpr_workgroup_id_y 0
		.amdhsa_system_sgpr_workgroup_id_z 0
		.amdhsa_system_sgpr_workgroup_info 0
		.amdhsa_system_vgpr_workitem_id 0
		.amdhsa_next_free_vgpr 256
		.amdhsa_next_free_sgpr 56
		.amdhsa_reserve_vcc 1
		.amdhsa_reserve_flat_scratch 0
		.amdhsa_float_round_mode_32 0
		.amdhsa_float_round_mode_16_64 0
		.amdhsa_float_denorm_mode_32 3
		.amdhsa_float_denorm_mode_16_64 3
		.amdhsa_dx10_clamp 1
		.amdhsa_ieee_mode 1
		.amdhsa_fp16_overflow 0
		.amdhsa_exception_fp_ieee_invalid_op 0
		.amdhsa_exception_fp_denorm_src 0
		.amdhsa_exception_fp_ieee_div_zero 0
		.amdhsa_exception_fp_ieee_overflow 0
		.amdhsa_exception_fp_ieee_underflow 0
		.amdhsa_exception_fp_ieee_inexact 0
		.amdhsa_exception_int_div_zero 0
	.end_amdhsa_kernel
	.text
.Lfunc_end0:
	.size	bluestein_single_back_len1690_dim1_dp_op_CI_CI, .Lfunc_end0-bluestein_single_back_len1690_dim1_dp_op_CI_CI
                                        ; -- End function
	.section	.AMDGPU.csdata,"",@progbits
; Kernel info:
; codeLenInByte = 25552
; NumSgprs: 60
; NumVgprs: 256
; ScratchSize: 324
; MemoryBound: 0
; FloatMode: 240
; IeeeMode: 1
; LDSByteSize: 27040 bytes/workgroup (compile time only)
; SGPRBlocks: 7
; VGPRBlocks: 63
; NumSGPRsForWavesPerEU: 60
; NumVGPRsForWavesPerEU: 256
; Occupancy: 1
; WaveLimiterHint : 1
; COMPUTE_PGM_RSRC2:SCRATCH_EN: 1
; COMPUTE_PGM_RSRC2:USER_SGPR: 6
; COMPUTE_PGM_RSRC2:TRAP_HANDLER: 0
; COMPUTE_PGM_RSRC2:TGID_X_EN: 1
; COMPUTE_PGM_RSRC2:TGID_Y_EN: 0
; COMPUTE_PGM_RSRC2:TGID_Z_EN: 0
; COMPUTE_PGM_RSRC2:TIDIG_COMP_CNT: 0
	.type	__hip_cuid_6809c29279717df4,@object ; @__hip_cuid_6809c29279717df4
	.section	.bss,"aw",@nobits
	.globl	__hip_cuid_6809c29279717df4
__hip_cuid_6809c29279717df4:
	.byte	0                               ; 0x0
	.size	__hip_cuid_6809c29279717df4, 1

	.ident	"AMD clang version 19.0.0git (https://github.com/RadeonOpenCompute/llvm-project roc-6.4.0 25133 c7fe45cf4b819c5991fe208aaa96edf142730f1d)"
	.section	".note.GNU-stack","",@progbits
	.addrsig
	.addrsig_sym __hip_cuid_6809c29279717df4
	.amdgpu_metadata
---
amdhsa.kernels:
  - .args:
      - .actual_access:  read_only
        .address_space:  global
        .offset:         0
        .size:           8
        .value_kind:     global_buffer
      - .actual_access:  read_only
        .address_space:  global
        .offset:         8
        .size:           8
        .value_kind:     global_buffer
      - .actual_access:  read_only
        .address_space:  global
        .offset:         16
        .size:           8
        .value_kind:     global_buffer
      - .actual_access:  read_only
        .address_space:  global
        .offset:         24
        .size:           8
        .value_kind:     global_buffer
      - .actual_access:  read_only
        .address_space:  global
        .offset:         32
        .size:           8
        .value_kind:     global_buffer
      - .offset:         40
        .size:           8
        .value_kind:     by_value
      - .address_space:  global
        .offset:         48
        .size:           8
        .value_kind:     global_buffer
      - .address_space:  global
        .offset:         56
        .size:           8
        .value_kind:     global_buffer
      - .address_space:  global
        .offset:         64
        .size:           8
        .value_kind:     global_buffer
      - .address_space:  global
        .offset:         72
        .size:           8
        .value_kind:     global_buffer
      - .offset:         80
        .size:           4
        .value_kind:     by_value
      - .address_space:  global
        .offset:         88
        .size:           8
        .value_kind:     global_buffer
      - .address_space:  global
        .offset:         96
        .size:           8
        .value_kind:     global_buffer
    .group_segment_fixed_size: 27040
    .kernarg_segment_align: 8
    .kernarg_segment_size: 104
    .language:       OpenCL C
    .language_version:
      - 2
      - 0
    .max_flat_workgroup_size: 169
    .name:           bluestein_single_back_len1690_dim1_dp_op_CI_CI
    .private_segment_fixed_size: 324
    .sgpr_count:     60
    .sgpr_spill_count: 0
    .symbol:         bluestein_single_back_len1690_dim1_dp_op_CI_CI.kd
    .uniform_work_group_size: 1
    .uses_dynamic_stack: false
    .vgpr_count:     256
    .vgpr_spill_count: 80
    .wavefront_size: 64
amdhsa.target:   amdgcn-amd-amdhsa--gfx906
amdhsa.version:
  - 1
  - 2
...

	.end_amdgpu_metadata
